;; amdgpu-corpus repo=ROCm/rocFFT kind=compiled arch=gfx1201 opt=O3
	.text
	.amdgcn_target "amdgcn-amd-amdhsa--gfx1201"
	.amdhsa_code_object_version 6
	.protected	fft_rtc_back_len1224_factors_17_3_4_6_wgs_204_tpt_102_halfLds_dp_op_CI_CI_unitstride_sbrr_R2C_dirReg ; -- Begin function fft_rtc_back_len1224_factors_17_3_4_6_wgs_204_tpt_102_halfLds_dp_op_CI_CI_unitstride_sbrr_R2C_dirReg
	.globl	fft_rtc_back_len1224_factors_17_3_4_6_wgs_204_tpt_102_halfLds_dp_op_CI_CI_unitstride_sbrr_R2C_dirReg
	.p2align	8
	.type	fft_rtc_back_len1224_factors_17_3_4_6_wgs_204_tpt_102_halfLds_dp_op_CI_CI_unitstride_sbrr_R2C_dirReg,@function
fft_rtc_back_len1224_factors_17_3_4_6_wgs_204_tpt_102_halfLds_dp_op_CI_CI_unitstride_sbrr_R2C_dirReg: ; @fft_rtc_back_len1224_factors_17_3_4_6_wgs_204_tpt_102_halfLds_dp_op_CI_CI_unitstride_sbrr_R2C_dirReg
; %bb.0:
	s_clause 0x2
	s_load_b128 s[8:11], s[0:1], 0x0
	s_load_b128 s[4:7], s[0:1], 0x58
	;; [unrolled: 1-line block ×3, first 2 shown]
	v_mul_u32_u24_e32 v1, 0x283, v0
	v_mov_b32_e32 v3, 0
	s_delay_alu instid0(VALU_DEP_2) | instskip(SKIP_2) | instid1(VALU_DEP_4)
	v_lshrrev_b32_e32 v7, 16, v1
	v_mov_b32_e32 v1, 0
	v_mov_b32_e32 v2, 0
	;; [unrolled: 1-line block ×3, first 2 shown]
	s_delay_alu instid0(VALU_DEP_4) | instskip(SKIP_2) | instid1(VALU_DEP_1)
	v_lshl_add_u32 v5, ttmp9, 1, v7
	s_wait_kmcnt 0x0
	v_cmp_lt_u64_e64 s2, s[10:11], 2
	s_and_b32 vcc_lo, exec_lo, s2
	s_cbranch_vccnz .LBB0_8
; %bb.1:
	s_load_b64 s[2:3], s[0:1], 0x10
	v_mov_b32_e32 v1, 0
	v_mov_b32_e32 v2, 0
	s_add_nc_u64 s[16:17], s[14:15], 8
	s_add_nc_u64 s[18:19], s[12:13], 8
	s_mov_b64 s[20:21], 1
	s_delay_alu instid0(VALU_DEP_1)
	v_dual_mov_b32 v69, v2 :: v_dual_mov_b32 v68, v1
	s_wait_kmcnt 0x0
	s_add_nc_u64 s[22:23], s[2:3], 8
	s_mov_b32 s3, 0
.LBB0_2:                                ; =>This Inner Loop Header: Depth=1
	s_load_b64 s[24:25], s[22:23], 0x0
                                        ; implicit-def: $vgpr72_vgpr73
	s_mov_b32 s2, exec_lo
	s_wait_kmcnt 0x0
	v_or_b32_e32 v4, s25, v6
	s_delay_alu instid0(VALU_DEP_1)
	v_cmpx_ne_u64_e32 0, v[3:4]
	s_wait_alu 0xfffe
	s_xor_b32 s26, exec_lo, s2
	s_cbranch_execz .LBB0_4
; %bb.3:                                ;   in Loop: Header=BB0_2 Depth=1
	s_cvt_f32_u32 s2, s24
	s_cvt_f32_u32 s27, s25
	s_sub_nc_u64 s[30:31], 0, s[24:25]
	s_wait_alu 0xfffe
	s_delay_alu instid0(SALU_CYCLE_1) | instskip(SKIP_1) | instid1(SALU_CYCLE_2)
	s_fmamk_f32 s2, s27, 0x4f800000, s2
	s_wait_alu 0xfffe
	v_s_rcp_f32 s2, s2
	s_delay_alu instid0(TRANS32_DEP_1) | instskip(SKIP_1) | instid1(SALU_CYCLE_2)
	s_mul_f32 s2, s2, 0x5f7ffffc
	s_wait_alu 0xfffe
	s_mul_f32 s27, s2, 0x2f800000
	s_wait_alu 0xfffe
	s_delay_alu instid0(SALU_CYCLE_2) | instskip(SKIP_1) | instid1(SALU_CYCLE_2)
	s_trunc_f32 s27, s27
	s_wait_alu 0xfffe
	s_fmamk_f32 s2, s27, 0xcf800000, s2
	s_cvt_u32_f32 s29, s27
	s_wait_alu 0xfffe
	s_delay_alu instid0(SALU_CYCLE_1) | instskip(SKIP_1) | instid1(SALU_CYCLE_2)
	s_cvt_u32_f32 s28, s2
	s_wait_alu 0xfffe
	s_mul_u64 s[34:35], s[30:31], s[28:29]
	s_wait_alu 0xfffe
	s_mul_hi_u32 s37, s28, s35
	s_mul_i32 s36, s28, s35
	s_mul_hi_u32 s2, s28, s34
	s_mul_i32 s33, s29, s34
	s_wait_alu 0xfffe
	s_add_nc_u64 s[36:37], s[2:3], s[36:37]
	s_mul_hi_u32 s27, s29, s34
	s_mul_hi_u32 s38, s29, s35
	s_add_co_u32 s2, s36, s33
	s_wait_alu 0xfffe
	s_add_co_ci_u32 s2, s37, s27
	s_mul_i32 s34, s29, s35
	s_add_co_ci_u32 s35, s38, 0
	s_wait_alu 0xfffe
	s_add_nc_u64 s[34:35], s[2:3], s[34:35]
	s_wait_alu 0xfffe
	v_add_co_u32 v4, s2, s28, s34
	s_delay_alu instid0(VALU_DEP_1) | instskip(SKIP_1) | instid1(VALU_DEP_1)
	s_cmp_lg_u32 s2, 0
	s_add_co_ci_u32 s29, s29, s35
	v_readfirstlane_b32 s28, v4
	s_wait_alu 0xfffe
	s_delay_alu instid0(VALU_DEP_1)
	s_mul_u64 s[30:31], s[30:31], s[28:29]
	s_wait_alu 0xfffe
	s_mul_hi_u32 s35, s28, s31
	s_mul_i32 s34, s28, s31
	s_mul_hi_u32 s2, s28, s30
	s_mul_i32 s33, s29, s30
	s_wait_alu 0xfffe
	s_add_nc_u64 s[34:35], s[2:3], s[34:35]
	s_mul_hi_u32 s27, s29, s30
	s_mul_hi_u32 s28, s29, s31
	s_wait_alu 0xfffe
	s_add_co_u32 s2, s34, s33
	s_add_co_ci_u32 s2, s35, s27
	s_mul_i32 s30, s29, s31
	s_add_co_ci_u32 s31, s28, 0
	s_wait_alu 0xfffe
	s_add_nc_u64 s[30:31], s[2:3], s[30:31]
	s_wait_alu 0xfffe
	v_add_co_u32 v4, s2, v4, s30
	s_delay_alu instid0(VALU_DEP_1) | instskip(SKIP_1) | instid1(VALU_DEP_1)
	s_cmp_lg_u32 s2, 0
	s_add_co_ci_u32 s2, s29, s31
	v_mul_hi_u32 v14, v5, v4
	s_wait_alu 0xfffe
	v_mad_co_u64_u32 v[8:9], null, v5, s2, 0
	v_mad_co_u64_u32 v[10:11], null, v6, v4, 0
	;; [unrolled: 1-line block ×3, first 2 shown]
	s_delay_alu instid0(VALU_DEP_3) | instskip(SKIP_1) | instid1(VALU_DEP_4)
	v_add_co_u32 v4, vcc_lo, v14, v8
	s_wait_alu 0xfffd
	v_add_co_ci_u32_e32 v8, vcc_lo, 0, v9, vcc_lo
	s_delay_alu instid0(VALU_DEP_2) | instskip(SKIP_1) | instid1(VALU_DEP_2)
	v_add_co_u32 v4, vcc_lo, v4, v10
	s_wait_alu 0xfffd
	v_add_co_ci_u32_e32 v4, vcc_lo, v8, v11, vcc_lo
	s_wait_alu 0xfffd
	v_add_co_ci_u32_e32 v8, vcc_lo, 0, v13, vcc_lo
	s_delay_alu instid0(VALU_DEP_2) | instskip(SKIP_1) | instid1(VALU_DEP_2)
	v_add_co_u32 v4, vcc_lo, v4, v12
	s_wait_alu 0xfffd
	v_add_co_ci_u32_e32 v10, vcc_lo, 0, v8, vcc_lo
	s_delay_alu instid0(VALU_DEP_2) | instskip(SKIP_1) | instid1(VALU_DEP_3)
	v_mul_lo_u32 v11, s25, v4
	v_mad_co_u64_u32 v[8:9], null, s24, v4, 0
	v_mul_lo_u32 v12, s24, v10
	s_delay_alu instid0(VALU_DEP_2) | instskip(NEXT) | instid1(VALU_DEP_2)
	v_sub_co_u32 v8, vcc_lo, v5, v8
	v_add3_u32 v9, v9, v12, v11
	s_delay_alu instid0(VALU_DEP_1) | instskip(SKIP_1) | instid1(VALU_DEP_1)
	v_sub_nc_u32_e32 v11, v6, v9
	s_wait_alu 0xfffd
	v_subrev_co_ci_u32_e64 v11, s2, s25, v11, vcc_lo
	v_add_co_u32 v12, s2, v4, 2
	s_wait_alu 0xf1ff
	v_add_co_ci_u32_e64 v13, s2, 0, v10, s2
	v_sub_co_u32 v14, s2, v8, s24
	v_sub_co_ci_u32_e32 v9, vcc_lo, v6, v9, vcc_lo
	s_wait_alu 0xf1ff
	v_subrev_co_ci_u32_e64 v11, s2, 0, v11, s2
	s_delay_alu instid0(VALU_DEP_3) | instskip(NEXT) | instid1(VALU_DEP_3)
	v_cmp_le_u32_e32 vcc_lo, s24, v14
	v_cmp_eq_u32_e64 s2, s25, v9
	s_wait_alu 0xfffd
	v_cndmask_b32_e64 v14, 0, -1, vcc_lo
	v_cmp_le_u32_e32 vcc_lo, s25, v11
	s_wait_alu 0xfffd
	v_cndmask_b32_e64 v15, 0, -1, vcc_lo
	v_cmp_le_u32_e32 vcc_lo, s24, v8
	;; [unrolled: 3-line block ×3, first 2 shown]
	s_wait_alu 0xfffd
	v_cndmask_b32_e64 v16, 0, -1, vcc_lo
	v_cmp_eq_u32_e32 vcc_lo, s25, v11
	s_wait_alu 0xf1ff
	s_delay_alu instid0(VALU_DEP_2)
	v_cndmask_b32_e64 v8, v16, v8, s2
	s_wait_alu 0xfffd
	v_cndmask_b32_e32 v11, v15, v14, vcc_lo
	v_add_co_u32 v14, vcc_lo, v4, 1
	s_wait_alu 0xfffd
	v_add_co_ci_u32_e32 v15, vcc_lo, 0, v10, vcc_lo
	s_delay_alu instid0(VALU_DEP_3) | instskip(SKIP_2) | instid1(VALU_DEP_3)
	v_cmp_ne_u32_e32 vcc_lo, 0, v11
	s_wait_alu 0xfffd
	v_cndmask_b32_e32 v11, v14, v12, vcc_lo
	v_cndmask_b32_e32 v9, v15, v13, vcc_lo
	v_cmp_ne_u32_e32 vcc_lo, 0, v8
	s_wait_alu 0xfffd
	s_delay_alu instid0(VALU_DEP_2)
	v_dual_cndmask_b32 v72, v4, v11 :: v_dual_cndmask_b32 v73, v10, v9
.LBB0_4:                                ;   in Loop: Header=BB0_2 Depth=1
	s_wait_alu 0xfffe
	s_and_not1_saveexec_b32 s2, s26
	s_cbranch_execz .LBB0_6
; %bb.5:                                ;   in Loop: Header=BB0_2 Depth=1
	v_cvt_f32_u32_e32 v4, s24
	s_sub_co_i32 s26, 0, s24
	v_mov_b32_e32 v73, v3
	s_delay_alu instid0(VALU_DEP_2) | instskip(NEXT) | instid1(TRANS32_DEP_1)
	v_rcp_iflag_f32_e32 v4, v4
	v_mul_f32_e32 v4, 0x4f7ffffe, v4
	s_delay_alu instid0(VALU_DEP_1) | instskip(SKIP_1) | instid1(VALU_DEP_1)
	v_cvt_u32_f32_e32 v4, v4
	s_wait_alu 0xfffe
	v_mul_lo_u32 v8, s26, v4
	s_delay_alu instid0(VALU_DEP_1) | instskip(NEXT) | instid1(VALU_DEP_1)
	v_mul_hi_u32 v8, v4, v8
	v_add_nc_u32_e32 v4, v4, v8
	s_delay_alu instid0(VALU_DEP_1) | instskip(NEXT) | instid1(VALU_DEP_1)
	v_mul_hi_u32 v4, v5, v4
	v_mul_lo_u32 v8, v4, s24
	s_delay_alu instid0(VALU_DEP_1) | instskip(NEXT) | instid1(VALU_DEP_1)
	v_sub_nc_u32_e32 v8, v5, v8
	v_subrev_nc_u32_e32 v10, s24, v8
	v_cmp_le_u32_e32 vcc_lo, s24, v8
	s_wait_alu 0xfffd
	s_delay_alu instid0(VALU_DEP_2) | instskip(NEXT) | instid1(VALU_DEP_1)
	v_dual_cndmask_b32 v8, v8, v10 :: v_dual_add_nc_u32 v9, 1, v4
	v_cndmask_b32_e32 v4, v4, v9, vcc_lo
	s_delay_alu instid0(VALU_DEP_2) | instskip(NEXT) | instid1(VALU_DEP_2)
	v_cmp_le_u32_e32 vcc_lo, s24, v8
	v_add_nc_u32_e32 v9, 1, v4
	s_wait_alu 0xfffd
	s_delay_alu instid0(VALU_DEP_1)
	v_cndmask_b32_e32 v72, v4, v9, vcc_lo
.LBB0_6:                                ;   in Loop: Header=BB0_2 Depth=1
	s_wait_alu 0xfffe
	s_or_b32 exec_lo, exec_lo, s2
	v_mul_lo_u32 v4, v73, s24
	s_delay_alu instid0(VALU_DEP_2)
	v_mul_lo_u32 v10, v72, s25
	s_load_b64 s[26:27], s[18:19], 0x0
	v_mad_co_u64_u32 v[8:9], null, v72, s24, 0
	s_load_b64 s[24:25], s[16:17], 0x0
	s_add_nc_u64 s[20:21], s[20:21], 1
	s_add_nc_u64 s[16:17], s[16:17], 8
	s_wait_alu 0xfffe
	v_cmp_ge_u64_e64 s2, s[20:21], s[10:11]
	s_add_nc_u64 s[18:19], s[18:19], 8
	s_add_nc_u64 s[22:23], s[22:23], 8
	v_add3_u32 v4, v9, v10, v4
	v_sub_co_u32 v5, vcc_lo, v5, v8
	s_wait_alu 0xfffd
	s_delay_alu instid0(VALU_DEP_2) | instskip(SKIP_2) | instid1(VALU_DEP_1)
	v_sub_co_ci_u32_e32 v4, vcc_lo, v6, v4, vcc_lo
	s_and_b32 vcc_lo, exec_lo, s2
	s_wait_kmcnt 0x0
	v_mul_lo_u32 v6, s26, v4
	v_mul_lo_u32 v8, s27, v5
	v_mad_co_u64_u32 v[1:2], null, s26, v5, v[1:2]
	v_mul_lo_u32 v4, s24, v4
	v_mul_lo_u32 v9, s25, v5
	v_mad_co_u64_u32 v[68:69], null, s24, v5, v[68:69]
	s_delay_alu instid0(VALU_DEP_4) | instskip(NEXT) | instid1(VALU_DEP_2)
	v_add3_u32 v2, v8, v2, v6
	v_add3_u32 v69, v9, v69, v4
	s_wait_alu 0xfffe
	s_cbranch_vccnz .LBB0_9
; %bb.7:                                ;   in Loop: Header=BB0_2 Depth=1
	v_dual_mov_b32 v5, v72 :: v_dual_mov_b32 v6, v73
	s_branch .LBB0_2
.LBB0_8:
	v_dual_mov_b32 v69, v2 :: v_dual_mov_b32 v68, v1
	v_dual_mov_b32 v73, v6 :: v_dual_mov_b32 v72, v5
.LBB0_9:
	s_load_b64 s[0:1], s[0:1], 0x28
	v_and_b32_e32 v4, 1, v7
	v_mul_hi_u32 v3, 0x2828283, v0
                                        ; implicit-def: $vgpr70
	s_wait_kmcnt 0x0
	v_cmp_gt_u64_e32 vcc_lo, s[0:1], v[72:73]
	v_cmp_le_u64_e64 s1, s[0:1], v[72:73]
	v_cmp_eq_u32_e64 s0, 1, v4
	s_delay_alu instid0(VALU_DEP_2)
	s_and_saveexec_b32 s2, s1
	s_wait_alu 0xfffe
	s_xor_b32 s1, exec_lo, s2
; %bb.10:
	v_mul_u32_u24_e32 v1, 0x66, v3
                                        ; implicit-def: $vgpr3
	s_delay_alu instid0(VALU_DEP_1)
	v_sub_nc_u32_e32 v70, v0, v1
                                        ; implicit-def: $vgpr0
                                        ; implicit-def: $vgpr1_vgpr2
; %bb.11:
	s_wait_alu 0xfffe
	s_or_saveexec_b32 s1, s1
	v_cndmask_b32_e64 v4, 0, 0x4c9, s0
	s_lshl_b64 s[2:3], s[10:11], 3
	s_delay_alu instid0(VALU_DEP_1)
	v_lshlrev_b32_e32 v89, 4, v4
	s_wait_alu 0xfffe
	s_xor_b32 exec_lo, exec_lo, s1
	s_cbranch_execz .LBB0_13
; %bb.12:
	s_add_nc_u64 s[10:11], s[12:13], s[2:3]
	v_lshlrev_b64_e32 v[1:2], 4, v[1:2]
	s_load_b64 s[10:11], s[10:11], 0x0
	s_wait_kmcnt 0x0
	v_mul_lo_u32 v6, s11, v72
	v_mul_lo_u32 v7, s10, v73
	v_mad_co_u64_u32 v[4:5], null, s10, v72, 0
	s_delay_alu instid0(VALU_DEP_1) | instskip(SKIP_1) | instid1(VALU_DEP_2)
	v_add3_u32 v5, v5, v7, v6
	v_mul_u32_u24_e32 v6, 0x66, v3
	v_lshlrev_b64_e32 v[3:4], 4, v[4:5]
	s_delay_alu instid0(VALU_DEP_2) | instskip(NEXT) | instid1(VALU_DEP_1)
	v_sub_nc_u32_e32 v70, v0, v6
	v_lshlrev_b32_e32 v48, 4, v70
	s_delay_alu instid0(VALU_DEP_3) | instskip(SKIP_1) | instid1(VALU_DEP_4)
	v_add_co_u32 v0, s0, s4, v3
	s_wait_alu 0xf1ff
	v_add_co_ci_u32_e64 v3, s0, s5, v4, s0
	s_delay_alu instid0(VALU_DEP_2) | instskip(SKIP_1) | instid1(VALU_DEP_2)
	v_add_co_u32 v0, s0, v0, v1
	s_wait_alu 0xf1ff
	v_add_co_ci_u32_e64 v1, s0, v3, v2, s0
	s_delay_alu instid0(VALU_DEP_2) | instskip(SKIP_1) | instid1(VALU_DEP_2)
	v_add_co_u32 v44, s0, v0, v48
	s_wait_alu 0xf1ff
	v_add_co_ci_u32_e64 v45, s0, 0, v1, s0
	s_clause 0xb
	global_load_b128 v[0:3], v[44:45], off
	global_load_b128 v[4:7], v[44:45], off offset:1632
	global_load_b128 v[8:11], v[44:45], off offset:3264
	;; [unrolled: 1-line block ×11, first 2 shown]
	v_add3_u32 v48, 0, v89, v48
	s_wait_loadcnt 0xb
	ds_store_b128 v48, v[0:3]
	s_wait_loadcnt 0xa
	ds_store_b128 v48, v[4:7] offset:1632
	s_wait_loadcnt 0x9
	ds_store_b128 v48, v[8:11] offset:3264
	;; [unrolled: 2-line block ×11, first 2 shown]
.LBB0_13:
	s_or_b32 exec_lo, exec_lo, s1
	v_lshlrev_b32_e32 v71, 4, v70
	v_add_nc_u32_e32 v111, 0, v89
	global_wb scope:SCOPE_SE
	s_wait_dscnt 0x0
	s_barrier_signal -1
	s_barrier_wait -1
	v_add_nc_u32_e32 v0, 0, v71
	v_add_nc_u32_e32 v112, v111, v71
	global_inv scope:SCOPE_SE
	s_add_nc_u64 s[2:3], s[14:15], s[2:3]
	s_mov_b32 s33, exec_lo
	v_add_nc_u32_e32 v88, v0, v89
	ds_load_b128 v[0:3], v112
	ds_load_b128 v[8:11], v88 offset:1152
	ds_load_b128 v[16:19], v88 offset:2304
	;; [unrolled: 1-line block ×16, first 2 shown]
	global_wb scope:SCOPE_SE
	s_wait_dscnt 0x0
	s_barrier_signal -1
	s_barrier_wait -1
	global_inv scope:SCOPE_SE
	v_cmpx_gt_u32_e32 0x48, v70
	s_cbranch_execz .LBB0_15
; %bb.14:
	v_add_f64_e32 v[76:77], v[0:1], v[8:9]
	v_add_f64_e32 v[74:75], v[2:3], v[10:11]
	v_add_f64_e64 v[86:87], v[64:65], -v[60:61]
	s_mov_b32 s22, 0x6c9a05f6
	s_mov_b32 s23, 0xbfe9895b
	;; [unrolled: 1-line block ×16, first 2 shown]
	s_wait_alu 0xfffe
	s_mov_b32 s46, s30
	s_mov_b32 s17, 0x3fdc86fa
	;; [unrolled: 1-line block ×13, first 2 shown]
	s_wait_alu 0xfffe
	s_mov_b32 s40, s24
	s_mov_b32 s26, s38
	;; [unrolled: 1-line block ×6, first 2 shown]
	v_add_f64_e32 v[76:77], v[76:77], v[16:17]
	v_add_f64_e32 v[74:75], v[74:75], v[18:19]
	s_mov_b32 s20, 0x370991
	s_mov_b32 s15, 0x3fb79ee6
	;; [unrolled: 1-line block ×5, first 2 shown]
	v_mov_b32_e32 v71, v112
	v_mul_f64_e32 v[160:161], s[24:25], v[86:87]
	s_mov_b32 s49, 0x3fe9895b
	s_mov_b32 s48, s22
	s_mov_b32 s51, 0x3feec746
	s_mov_b32 s50, s44
	v_mul_f64_e32 v[164:165], s[42:43], v[86:87]
	v_mul_f64_e32 v[192:193], s[28:29], v[86:87]
	v_mul_f64_e32 v[220:221], s[38:39], v[86:87]
	v_mul_f64_e32 v[248:249], s[36:37], v[86:87]
	v_add_f64_e32 v[76:77], v[76:77], v[24:25]
	v_add_f64_e32 v[74:75], v[74:75], v[26:27]
	s_delay_alu instid0(VALU_DEP_2) | instskip(NEXT) | instid1(VALU_DEP_2)
	v_add_f64_e32 v[76:77], v[76:77], v[32:33]
	v_add_f64_e32 v[74:75], v[74:75], v[34:35]
	s_delay_alu instid0(VALU_DEP_2) | instskip(NEXT) | instid1(VALU_DEP_2)
	v_add_f64_e32 v[76:77], v[76:77], v[40:41]
	v_add_f64_e32 v[74:75], v[74:75], v[42:43]
	s_delay_alu instid0(VALU_DEP_2) | instskip(NEXT) | instid1(VALU_DEP_2)
	v_add_f64_e32 v[76:77], v[76:77], v[48:49]
	v_add_f64_e32 v[74:75], v[74:75], v[50:51]
	s_delay_alu instid0(VALU_DEP_2) | instskip(NEXT) | instid1(VALU_DEP_2)
	v_add_f64_e32 v[76:77], v[76:77], v[56:57]
	v_add_f64_e32 v[74:75], v[74:75], v[58:59]
	s_delay_alu instid0(VALU_DEP_2) | instskip(NEXT) | instid1(VALU_DEP_2)
	v_add_f64_e32 v[80:81], v[76:77], v[64:65]
	v_add_f64_e32 v[78:79], v[74:75], v[66:67]
	v_add_f64_e32 v[64:65], v[64:65], v[60:61]
	v_add_f64_e32 v[74:75], v[66:67], v[62:63]
	v_add_f64_e64 v[66:67], v[66:67], -v[62:63]
	v_add_f64_e32 v[80:81], v[80:81], v[60:61]
	v_add_f64_e32 v[78:79], v[78:79], v[62:63]
	;; [unrolled: 1-line block ×3, first 2 shown]
	v_add_f64_e64 v[58:59], v[58:59], -v[54:55]
	v_add_f64_e64 v[62:63], v[56:57], -v[52:53]
	v_add_f64_e32 v[56:57], v[56:57], v[52:53]
	v_mul_f64_e32 v[162:163], s[24:25], v[66:67]
	v_mul_f64_e32 v[166:167], s[42:43], v[66:67]
	;; [unrolled: 1-line block ×5, first 2 shown]
	v_add_f64_e32 v[80:81], v[80:81], v[52:53]
	v_add_f64_e32 v[78:79], v[78:79], v[54:55]
	v_add_f64_e64 v[54:55], v[48:49], -v[44:45]
	v_add_f64_e32 v[48:49], v[48:49], v[44:45]
	v_add_f64_e32 v[52:53], v[50:51], v[46:47]
	v_add_f64_e64 v[50:51], v[50:51], -v[46:47]
	v_mul_f64_e32 v[188:189], s[36:37], v[62:63]
	v_mul_f64_e32 v[190:191], s[36:37], v[58:59]
	v_mul_f64_e32 v[216:217], s[42:43], v[62:63]
	v_mul_f64_e32 v[218:219], s[42:43], v[58:59]
	v_mul_f64_e32 v[244:245], s[40:41], v[62:63]
	v_mul_f64_e32 v[246:247], s[40:41], v[58:59]
	v_add_f64_e32 v[80:81], v[80:81], v[44:45]
	v_add_f64_e32 v[78:79], v[78:79], v[46:47]
	;; [unrolled: 1-line block ×3, first 2 shown]
	v_add_f64_e64 v[42:43], v[42:43], -v[38:39]
	v_add_f64_e64 v[46:47], v[40:41], -v[36:37]
	v_add_f64_e32 v[40:41], v[40:41], v[36:37]
	v_mul_f64_e32 v[184:185], s[22:23], v[54:55]
	v_mul_f64_e32 v[186:187], s[22:23], v[50:51]
	;; [unrolled: 1-line block ×4, first 2 shown]
	s_wait_alu 0xfffe
	v_mul_f64_e32 v[240:241], s[26:27], v[54:55]
	v_mul_f64_e32 v[242:243], s[26:27], v[50:51]
	;; [unrolled: 1-line block ×3, first 2 shown]
	v_add_f64_e32 v[80:81], v[80:81], v[36:37]
	v_add_f64_e32 v[78:79], v[78:79], v[38:39]
	v_add_f64_e64 v[38:39], v[32:33], -v[28:29]
	v_add_f64_e32 v[32:33], v[32:33], v[28:29]
	v_add_f64_e32 v[36:37], v[34:35], v[30:31]
	v_add_f64_e64 v[34:35], v[34:35], -v[30:31]
	v_mul_f64_e32 v[180:181], s[44:45], v[46:47]
	v_mul_f64_e32 v[182:183], s[44:45], v[42:43]
	;; [unrolled: 1-line block ×6, first 2 shown]
	v_add_f64_e32 v[80:81], v[80:81], v[28:29]
	v_add_f64_e32 v[78:79], v[78:79], v[30:31]
	;; [unrolled: 1-line block ×3, first 2 shown]
	v_add_f64_e64 v[26:27], v[26:27], -v[22:23]
	v_add_f64_e64 v[30:31], v[24:25], -v[20:21]
	v_add_f64_e32 v[24:25], v[24:25], v[20:21]
	v_mul_f64_e32 v[176:177], s[40:41], v[38:39]
	v_mul_f64_e32 v[178:179], s[40:41], v[34:35]
	;; [unrolled: 1-line block ×8, first 2 shown]
	v_add_f64_e32 v[80:81], v[80:81], v[20:21]
	v_add_f64_e32 v[78:79], v[78:79], v[22:23]
	v_add_f64_e64 v[22:23], v[16:17], -v[12:13]
	v_add_f64_e32 v[16:17], v[16:17], v[12:13]
	v_add_f64_e32 v[20:21], v[18:19], v[14:15]
	v_add_f64_e64 v[18:19], v[18:19], -v[14:15]
	v_mul_f64_e32 v[172:173], s[34:35], v[30:31]
	v_mul_f64_e32 v[174:175], s[34:35], v[26:27]
	;; [unrolled: 1-line block ×5, first 2 shown]
	v_add_f64_e32 v[12:13], v[80:81], v[12:13]
	v_add_f64_e32 v[80:81], v[10:11], v[6:7]
	v_add_f64_e64 v[10:11], v[10:11], -v[6:7]
	v_add_f64_e32 v[14:15], v[78:79], v[14:15]
	v_add_f64_e64 v[78:79], v[8:9], -v[4:5]
	v_add_f64_e32 v[8:9], v[8:9], v[4:5]
	v_mul_f64_e32 v[168:169], s[46:47], v[22:23]
	v_mul_f64_e32 v[170:171], s[46:47], v[18:19]
	;; [unrolled: 1-line block ×7, first 2 shown]
	v_add_f64_e32 v[4:5], v[12:13], v[4:5]
	v_mul_f64_e32 v[114:115], s[22:23], v[10:11]
	v_add_f64_e32 v[6:7], v[14:15], v[6:7]
	v_mul_f64_e32 v[84:85], s[44:45], v[78:79]
	v_mul_f64_e32 v[92:93], s[34:35], v[78:79]
	;; [unrolled: 1-line block ×12, first 2 shown]
	v_fma_f64 v[128:129], v[8:9], s[10:11], -v[114:115]
	v_fma_f64 v[114:115], v[8:9], s[10:11], v[114:115]
	scratch_store_b128 off, v[4:7], off     ; 16-byte Folded Spill
	v_fma_f64 v[102:103], v[80:81], s[12:13], v[84:85]
	v_fma_f64 v[106:107], v[80:81], s[16:17], v[92:93]
	;; [unrolled: 1-line block ×4, first 2 shown]
	v_fma_f64 v[12:13], v[80:81], s[0:1], -v[12:13]
	v_fma_f64 v[98:99], v[80:81], s[4:5], v[14:15]
	v_fma_f64 v[14:15], v[80:81], s[4:5], -v[14:15]
	v_fma_f64 v[100:101], v[80:81], s[10:11], v[82:83]
	v_fma_f64 v[82:83], v[80:81], s[10:11], -v[82:83]
	v_fma_f64 v[84:85], v[80:81], s[12:13], -v[84:85]
	v_fma_f64 v[104:105], v[80:81], s[14:15], v[90:91]
	v_fma_f64 v[90:91], v[80:81], s[14:15], -v[90:91]
	v_fma_f64 v[92:93], v[80:81], s[16:17], -v[92:93]
	;; [unrolled: 1-line block ×3, first 2 shown]
	v_fma_f64 v[110:111], v[80:81], s[20:21], v[78:79]
	v_fma_f64 v[112:113], v[80:81], s[20:21], -v[78:79]
	v_mul_f64_e32 v[78:79], s[28:29], v[10:11]
	v_mul_f64_e32 v[80:81], s[36:37], v[10:11]
	v_mul_f64_e32 v[10:11], s[26:27], v[10:11]
	v_fma_f64 v[136:137], v[8:9], s[18:19], -v[122:123]
	v_fma_f64 v[130:131], v[8:9], s[12:13], -v[116:117]
	v_fma_f64 v[116:117], v[8:9], s[12:13], v[116:117]
	v_fma_f64 v[132:133], v[8:9], s[14:15], -v[118:119]
	v_fma_f64 v[118:119], v[8:9], s[14:15], v[118:119]
	;; [unrolled: 2-line block ×3, first 2 shown]
	v_fma_f64 v[122:123], v[8:9], s[18:19], v[122:123]
	v_add_f64_e32 v[128:129], v[0:1], v[128:129]
	v_add_f64_e32 v[4:5], v[0:1], v[114:115]
	v_add_f64_e32 v[12:13], v[2:3], v[12:13]
	v_add_f64_e32 v[98:99], v[2:3], v[98:99]
	v_add_f64_e32 v[140:141], v[2:3], v[14:15]
	v_mul_f64_e32 v[14:15], s[36:37], v[30:31]
	v_add_f64_e32 v[100:101], v[2:3], v[100:101]
	v_add_f64_e32 v[114:115], v[2:3], v[84:85]
	;; [unrolled: 1-line block ×5, first 2 shown]
	v_fma_f64 v[124:125], v[8:9], s[0:1], -v[78:79]
	v_fma_f64 v[78:79], v[8:9], s[0:1], v[78:79]
	v_fma_f64 v[126:127], v[8:9], s[4:5], -v[80:81]
	v_fma_f64 v[80:81], v[8:9], s[4:5], v[80:81]
	v_fma_f64 v[138:139], v[8:9], s[20:21], -v[10:11]
	v_fma_f64 v[8:9], v[8:9], s[20:21], v[10:11]
	v_add_f64_e32 v[10:11], v[2:3], v[96:97]
	v_add_f64_e32 v[130:131], v[0:1], v[130:131]
	v_add_f64_e32 v[116:117], v[0:1], v[116:117]
	v_add_f64_e32 v[132:133], v[0:1], v[132:133]
	v_add_f64_e32 v[118:119], v[0:1], v[118:119]
	v_add_f64_e32 v[134:135], v[0:1], v[134:135]
	v_add_f64_e32 v[120:121], v[0:1], v[120:121]
	v_add_f64_e32 v[104:105], v[0:1], v[122:123]
	scratch_store_b64 off, v[4:5], off offset:96 ; 8-byte Folded Spill
	v_add_f64_e32 v[4:5], v[2:3], v[102:103]
	v_add_f64_e32 v[102:103], v[2:3], v[94:95]
	v_fma_f64 v[90:91], v[28:29], s[4:5], v[14:15]
	v_add_f64_e32 v[96:97], v[0:1], v[124:125]
	v_add_f64_e32 v[124:125], v[0:1], v[78:79]
	;; [unrolled: 1-line block ×4, first 2 shown]
	scratch_store_b64 off, v[4:5], off offset:88 ; 8-byte Folded Spill
	v_add_f64_e32 v[4:5], v[2:3], v[106:107]
	v_add_f64_e32 v[106:107], v[2:3], v[92:93]
	scratch_store_b64 off, v[4:5], off offset:80 ; 8-byte Folded Spill
	v_add_f64_e32 v[4:5], v[2:3], v[108:109]
	v_add_f64_e32 v[108:109], v[2:3], v[112:113]
	scratch_store_b64 off, v[4:5], off offset:72 ; 8-byte Folded Spill
	v_add_f64_e32 v[4:5], v[0:1], v[136:137]
	scratch_store_b64 off, v[4:5], off offset:64 ; 8-byte Folded Spill
	v_add_f64_e32 v[4:5], v[2:3], v[110:111]
	v_add_f64_e32 v[110:111], v[0:1], v[8:9]
	v_mul_f64_e32 v[8:9], s[38:39], v[22:23]
	scratch_store_b64 off, v[4:5], off offset:40 ; 8-byte Folded Spill
	v_add_f64_e32 v[4:5], v[0:1], v[138:139]
	v_fma_f64 v[0:1], v[20:21], s[20:21], v[8:9]
	v_fma_f64 v[8:9], v[20:21], s[20:21], -v[8:9]
	s_delay_alu instid0(VALU_DEP_2) | instskip(SKIP_1) | instid1(VALU_DEP_3)
	v_add_f64_e32 v[0:1], v[0:1], v[10:11]
	v_mul_f64_e32 v[10:11], s[38:39], v[18:19]
	v_add_f64_e32 v[8:9], v[8:9], v[12:13]
	v_fma_f64 v[12:13], v[28:29], s[4:5], -v[14:15]
	v_fma_f64 v[14:15], v[64:65], s[14:15], v[162:163]
	v_add_f64_e32 v[0:1], v[90:91], v[0:1]
	v_fma_f64 v[2:3], v[16:17], s[20:21], -v[10:11]
	v_mul_f64_e32 v[90:91], s[36:37], v[26:27]
	v_fma_f64 v[10:11], v[16:17], s[20:21], v[10:11]
	v_add_f64_e32 v[8:9], v[12:13], v[8:9]
	s_delay_alu instid0(VALU_DEP_4) | instskip(NEXT) | instid1(VALU_DEP_4)
	v_add_f64_e32 v[2:3], v[2:3], v[96:97]
	v_fma_f64 v[92:93], v[24:25], s[4:5], -v[90:91]
	s_delay_alu instid0(VALU_DEP_4) | instskip(SKIP_2) | instid1(VALU_DEP_4)
	v_add_f64_e32 v[10:11], v[10:11], v[124:125]
	v_fma_f64 v[12:13], v[24:25], s[4:5], v[90:91]
	v_mul_f64_e32 v[90:91], s[42:43], v[22:23]
	v_add_f64_e32 v[2:3], v[92:93], v[2:3]
	v_mul_f64_e32 v[92:93], s[30:31], v[38:39]
	s_delay_alu instid0(VALU_DEP_4) | instskip(NEXT) | instid1(VALU_DEP_2)
	v_add_f64_e32 v[10:11], v[12:13], v[10:11]
	v_fma_f64 v[94:95], v[36:37], s[18:19], v[92:93]
	v_fma_f64 v[12:13], v[36:37], s[18:19], -v[92:93]
	v_mul_f64_e32 v[92:93], s[42:43], v[18:19]
	s_delay_alu instid0(VALU_DEP_3) | instskip(SKIP_1) | instid1(VALU_DEP_4)
	v_add_f64_e32 v[0:1], v[94:95], v[0:1]
	v_mul_f64_e32 v[94:95], s[30:31], v[34:35]
	v_add_f64_e32 v[8:9], v[12:13], v[8:9]
	s_delay_alu instid0(VALU_DEP_2) | instskip(SKIP_2) | instid1(VALU_DEP_3)
	v_fma_f64 v[96:97], v[32:33], s[18:19], -v[94:95]
	v_fma_f64 v[12:13], v[32:33], s[18:19], v[94:95]
	v_mul_f64_e32 v[94:95], s[40:41], v[30:31]
	v_add_f64_e32 v[2:3], v[96:97], v[2:3]
	v_mul_f64_e32 v[96:97], s[22:23], v[46:47]
	s_delay_alu instid0(VALU_DEP_4) | instskip(NEXT) | instid1(VALU_DEP_2)
	v_add_f64_e32 v[10:11], v[12:13], v[10:11]
	v_fma_f64 v[112:113], v[44:45], s[10:11], v[96:97]
	v_fma_f64 v[12:13], v[44:45], s[10:11], -v[96:97]
	v_fma_f64 v[96:97], v[28:29], s[14:15], v[94:95]
	v_fma_f64 v[94:95], v[28:29], s[14:15], -v[94:95]
	s_delay_alu instid0(VALU_DEP_4) | instskip(SKIP_2) | instid1(VALU_DEP_2)
	v_add_f64_e32 v[0:1], v[112:113], v[0:1]
	v_mul_f64_e32 v[112:113], s[22:23], v[42:43]
	v_add_f64_e32 v[8:9], v[12:13], v[8:9]
	v_fma_f64 v[122:123], v[40:41], s[10:11], -v[112:113]
	v_fma_f64 v[12:13], v[40:41], s[10:11], v[112:113]
	s_delay_alu instid0(VALU_DEP_2) | instskip(SKIP_1) | instid1(VALU_DEP_3)
	v_add_f64_e32 v[2:3], v[122:123], v[2:3]
	v_mul_f64_e32 v[122:123], s[42:43], v[54:55]
	v_add_f64_e32 v[10:11], v[12:13], v[10:11]
	s_delay_alu instid0(VALU_DEP_2) | instskip(SKIP_1) | instid1(VALU_DEP_2)
	v_fma_f64 v[136:137], v[52:53], s[16:17], v[122:123]
	v_fma_f64 v[12:13], v[52:53], s[16:17], -v[122:123]
	v_add_f64_e32 v[0:1], v[136:137], v[0:1]
	v_mul_f64_e32 v[136:137], s[42:43], v[50:51]
	s_delay_alu instid0(VALU_DEP_3)
	v_add_f64_e32 v[8:9], v[12:13], v[8:9]
	s_mov_b32 s43, 0x3fc7851a
	s_mov_b32 s42, s28
	s_wait_alu 0xfffe
	v_mul_f64_e32 v[228:229], s[42:43], v[30:31]
	v_mul_f64_e32 v[230:231], s[42:43], v[26:27]
	s_delay_alu instid0(VALU_DEP_4) | instskip(SKIP_1) | instid1(VALU_DEP_2)
	v_fma_f64 v[138:139], v[48:49], s[16:17], -v[136:137]
	v_fma_f64 v[12:13], v[48:49], s[16:17], v[136:137]
	v_add_f64_e32 v[2:3], v[138:139], v[2:3]
	v_mul_f64_e32 v[138:139], s[44:45], v[62:63]
	s_delay_alu instid0(VALU_DEP_3) | instskip(NEXT) | instid1(VALU_DEP_2)
	v_add_f64_e32 v[10:11], v[12:13], v[10:11]
	v_fma_f64 v[156:157], v[60:61], s[12:13], v[138:139]
	v_fma_f64 v[12:13], v[60:61], s[12:13], -v[138:139]
	s_delay_alu instid0(VALU_DEP_2) | instskip(SKIP_1) | instid1(VALU_DEP_3)
	v_add_f64_e32 v[0:1], v[156:157], v[0:1]
	v_mul_f64_e32 v[156:157], s[44:45], v[58:59]
	v_add_f64_e32 v[8:9], v[12:13], v[8:9]
	s_delay_alu instid0(VALU_DEP_2) | instskip(SKIP_1) | instid1(VALU_DEP_2)
	v_fma_f64 v[158:159], v[56:57], s[12:13], -v[156:157]
	v_fma_f64 v[12:13], v[56:57], s[12:13], v[156:157]
	v_add_f64_e32 v[158:159], v[158:159], v[2:3]
	v_fma_f64 v[2:3], v[74:75], s[14:15], v[160:161]
	s_delay_alu instid0(VALU_DEP_3) | instskip(SKIP_2) | instid1(VALU_DEP_4)
	v_add_f64_e32 v[12:13], v[12:13], v[10:11]
	v_fma_f64 v[10:11], v[74:75], s[14:15], -v[160:161]
	v_mul_f64_e32 v[160:161], s[44:45], v[86:87]
	v_add_f64_e32 v[2:3], v[2:3], v[0:1]
	v_fma_f64 v[0:1], v[64:65], s[14:15], -v[162:163]
	v_mul_f64_e32 v[162:163], s[44:45], v[66:67]
	s_mov_b32 s45, 0x3fe0d888
	s_mov_b32 s44, s36
	s_wait_alu 0xfffe
	v_mul_f64_e32 v[208:209], s[44:45], v[46:47]
	v_mul_f64_e32 v[210:211], s[44:45], v[42:43]
	s_delay_alu instid0(VALU_DEP_4)
	v_add_f64_e32 v[0:1], v[0:1], v[158:159]
	scratch_store_b64 off, v[4:5], off offset:32 ; 8-byte Folded Spill
	v_mul_f64_e32 v[4:5], s[48:49], v[62:63]
	scratch_store_b128 off, v[0:3], off offset:16 ; 16-byte Folded Spill
	v_add_f64_e32 v[0:1], v[14:15], v[12:13]
	v_fma_f64 v[12:13], v[20:21], s[16:17], v[90:91]
	v_fma_f64 v[14:15], v[16:17], s[16:17], -v[92:93]
	v_fma_f64 v[90:91], v[20:21], s[16:17], -v[90:91]
	v_fma_f64 v[92:93], v[16:17], s[16:17], v[92:93]
	v_add_f64_e32 v[2:3], v[10:11], v[8:9]
	v_mul_f64_e32 v[8:9], s[36:37], v[50:51]
	v_add_f64_e32 v[12:13], v[12:13], v[98:99]
	v_add_f64_e32 v[14:15], v[14:15], v[126:127]
	;; [unrolled: 1-line block ×4, first 2 shown]
	v_mul_f64_e32 v[140:141], s[24:25], v[46:47]
	v_mul_f64_e32 v[142:143], s[24:25], v[42:43]
	v_fma_f64 v[6:7], v[48:49], s[4:5], v[8:9]
	scratch_store_b128 off, v[0:3], off offset:48 ; 16-byte Folded Spill
	v_mul_f64_e32 v[2:3], s[48:49], v[58:59]
	v_mul_f64_e32 v[0:1], s[30:31], v[86:87]
	v_fma_f64 v[8:9], v[48:49], s[4:5], -v[8:9]
	v_add_f64_e32 v[12:13], v[96:97], v[12:13]
	v_mul_f64_e32 v[96:97], s[40:41], v[26:27]
	v_add_f64_e32 v[90:91], v[94:95], v[90:91]
	v_fma_f64 v[10:11], v[74:75], s[18:19], -v[0:1]
	v_fma_f64 v[0:1], v[74:75], s[18:19], v[0:1]
	s_delay_alu instid0(VALU_DEP_4) | instskip(SKIP_2) | instid1(VALU_DEP_3)
	v_fma_f64 v[98:99], v[24:25], s[14:15], -v[96:97]
	v_fma_f64 v[94:95], v[24:25], s[14:15], v[96:97]
	v_fma_f64 v[96:97], v[64:65], s[12:13], v[162:163]
	v_add_f64_e32 v[14:15], v[98:99], v[14:15]
	v_mul_f64_e32 v[98:99], s[48:49], v[38:39]
	s_delay_alu instid0(VALU_DEP_4) | instskip(NEXT) | instid1(VALU_DEP_2)
	v_add_f64_e32 v[92:93], v[94:95], v[92:93]
	v_fma_f64 v[112:113], v[36:37], s[10:11], v[98:99]
	v_fma_f64 v[94:95], v[36:37], s[10:11], -v[98:99]
	s_delay_alu instid0(VALU_DEP_2) | instskip(SKIP_1) | instid1(VALU_DEP_3)
	v_add_f64_e32 v[12:13], v[112:113], v[12:13]
	v_mul_f64_e32 v[112:113], s[48:49], v[34:35]
	v_add_f64_e32 v[90:91], v[94:95], v[90:91]
	s_delay_alu instid0(VALU_DEP_2) | instskip(SKIP_1) | instid1(VALU_DEP_2)
	v_fma_f64 v[122:123], v[32:33], s[10:11], -v[112:113]
	v_fma_f64 v[94:95], v[32:33], s[10:11], v[112:113]
	v_add_f64_e32 v[14:15], v[122:123], v[14:15]
	v_mul_f64_e32 v[122:123], s[26:27], v[46:47]
	s_delay_alu instid0(VALU_DEP_3) | instskip(SKIP_1) | instid1(VALU_DEP_3)
	v_add_f64_e32 v[92:93], v[94:95], v[92:93]
	v_mul_f64_e32 v[46:47], s[28:29], v[46:47]
	v_fma_f64 v[124:125], v[44:45], s[20:21], v[122:123]
	v_fma_f64 v[94:95], v[44:45], s[20:21], -v[122:123]
	v_mul_f64_e32 v[122:123], s[50:51], v[22:23]
	s_delay_alu instid0(VALU_DEP_3) | instskip(SKIP_1) | instid1(VALU_DEP_4)
	v_add_f64_e32 v[12:13], v[124:125], v[12:13]
	v_mul_f64_e32 v[124:125], s[26:27], v[42:43]
	v_add_f64_e32 v[90:91], v[94:95], v[90:91]
	v_mul_f64_e32 v[42:43], s[28:29], v[42:43]
	s_delay_alu instid0(VALU_DEP_3) | instskip(SKIP_2) | instid1(VALU_DEP_3)
	v_fma_f64 v[126:127], v[40:41], s[20:21], -v[124:125]
	v_fma_f64 v[94:95], v[40:41], s[20:21], v[124:125]
	v_mul_f64_e32 v[124:125], s[50:51], v[18:19]
	v_add_f64_e32 v[14:15], v[126:127], v[14:15]
	v_mul_f64_e32 v[126:127], s[28:29], v[54:55]
	s_delay_alu instid0(VALU_DEP_4) | instskip(NEXT) | instid1(VALU_DEP_2)
	v_add_f64_e32 v[92:93], v[94:95], v[92:93]
	v_fma_f64 v[136:137], v[52:53], s[0:1], v[126:127]
	v_fma_f64 v[94:95], v[52:53], s[0:1], -v[126:127]
	v_mul_f64_e32 v[126:127], s[26:27], v[30:31]
	v_mul_f64_e32 v[30:31], s[30:31], v[30:31]
	s_delay_alu instid0(VALU_DEP_4) | instskip(SKIP_3) | instid1(VALU_DEP_3)
	v_add_f64_e32 v[12:13], v[136:137], v[12:13]
	v_mul_f64_e32 v[136:137], s[28:29], v[50:51]
	v_add_f64_e32 v[90:91], v[94:95], v[90:91]
	v_fma_f64 v[98:99], v[28:29], s[20:21], v[126:127]
	v_fma_f64 v[138:139], v[48:49], s[0:1], -v[136:137]
	v_fma_f64 v[94:95], v[48:49], s[0:1], v[136:137]
	v_mul_f64_e32 v[136:137], s[36:37], v[38:39]
	v_mul_f64_e32 v[38:39], s[34:35], v[38:39]
	s_delay_alu instid0(VALU_DEP_4) | instskip(SKIP_2) | instid1(VALU_DEP_2)
	v_add_f64_e32 v[14:15], v[138:139], v[14:15]
	v_mul_f64_e32 v[138:139], s[30:31], v[62:63]
	v_add_f64_e32 v[92:93], v[94:95], v[92:93]
	v_fma_f64 v[156:157], v[60:61], s[18:19], v[138:139]
	v_fma_f64 v[94:95], v[60:61], s[18:19], -v[138:139]
	v_mul_f64_e32 v[138:139], s[36:37], v[34:35]
	v_mul_f64_e32 v[34:35], s[34:35], v[34:35]
	s_delay_alu instid0(VALU_DEP_4) | instskip(SKIP_2) | instid1(VALU_DEP_2)
	v_add_f64_e32 v[12:13], v[156:157], v[12:13]
	v_mul_f64_e32 v[156:157], s[30:31], v[58:59]
	v_add_f64_e32 v[90:91], v[94:95], v[90:91]
	v_fma_f64 v[94:95], v[56:57], s[18:19], v[156:157]
	v_fma_f64 v[158:159], v[56:57], s[18:19], -v[156:157]
	v_mul_f64_e32 v[156:157], s[46:47], v[54:55]
	v_mul_f64_e32 v[54:55], s[24:25], v[54:55]
	s_delay_alu instid0(VALU_DEP_4)
	v_add_f64_e32 v[94:95], v[94:95], v[92:93]
	v_fma_f64 v[92:93], v[74:75], s[12:13], -v[160:161]
	v_add_f64_e32 v[158:159], v[158:159], v[14:15]
	v_fma_f64 v[14:15], v[74:75], s[12:13], v[160:161]
	v_mul_f64_e32 v[160:161], s[28:29], v[62:63]
	v_mul_f64_e32 v[62:63], s[26:27], v[62:63]
	v_add_f64_e32 v[92:93], v[92:93], v[90:91]
	v_add_f64_e32 v[90:91], v[96:97], v[94:95]
	v_fma_f64 v[94:95], v[20:21], s[12:13], v[122:123]
	v_fma_f64 v[96:97], v[16:17], s[12:13], -v[124:125]
	v_add_f64_e32 v[78:79], v[14:15], v[12:13]
	v_fma_f64 v[12:13], v[64:65], s[12:13], -v[162:163]
	v_mul_f64_e32 v[162:163], s[28:29], v[58:59]
	scratch_load_b64 v[14:15], off, off offset:96 th:TH_LOAD_LU ; 8-byte Folded Reload
	v_mul_f64_e32 v[58:59], s[26:27], v[58:59]
	v_add_f64_e32 v[94:95], v[94:95], v[100:101]
	v_add_f64_e32 v[96:97], v[96:97], v[128:129]
	v_mul_f64_e32 v[128:129], s[26:27], v[26:27]
	v_add_f64_e32 v[76:77], v[12:13], v[158:159]
	v_mul_f64_e32 v[158:159], s[46:47], v[50:51]
	v_fma_f64 v[100:101], v[16:17], s[18:19], v[170:171]
	v_mul_f64_e32 v[12:13], s[50:51], v[26:27]
	v_mul_f64_e32 v[26:27], s[30:31], v[26:27]
	;; [unrolled: 1-line block ×3, first 2 shown]
	v_add_f64_e32 v[94:95], v[98:99], v[94:95]
	v_fma_f64 v[98:99], v[24:25], s[20:21], -v[128:129]
	v_add_f64_e32 v[100:101], v[100:101], v[110:111]
	v_fma_f64 v[110:111], v[28:29], s[0:1], -v[228:229]
	s_delay_alu instid0(VALU_DEP_3) | instskip(SKIP_1) | instid1(VALU_DEP_1)
	v_add_f64_e32 v[96:97], v[98:99], v[96:97]
	v_fma_f64 v[98:99], v[36:37], s[4:5], v[136:137]
	v_add_f64_e32 v[94:95], v[98:99], v[94:95]
	v_fma_f64 v[98:99], v[32:33], s[4:5], -v[138:139]
	s_delay_alu instid0(VALU_DEP_1) | instskip(SKIP_1) | instid1(VALU_DEP_1)
	v_add_f64_e32 v[96:97], v[98:99], v[96:97]
	v_fma_f64 v[98:99], v[44:45], s[14:15], v[140:141]
	v_add_f64_e32 v[94:95], v[98:99], v[94:95]
	v_fma_f64 v[98:99], v[40:41], s[14:15], -v[142:143]
	s_delay_alu instid0(VALU_DEP_1) | instskip(SKIP_1) | instid1(VALU_DEP_1)
	;; [unrolled: 5-line block ×5, first 2 shown]
	v_add_f64_e32 v[94:95], v[94:95], v[98:99]
	v_fma_f64 v[98:99], v[20:21], s[18:19], -v[168:169]
	v_add_f64_e32 v[98:99], v[98:99], v[108:109]
	v_fma_f64 v[108:109], v[28:29], s[16:17], -v[172:173]
	s_delay_alu instid0(VALU_DEP_1) | instskip(SKIP_1) | instid1(VALU_DEP_1)
	v_add_f64_e32 v[98:99], v[108:109], v[98:99]
	v_fma_f64 v[108:109], v[24:25], s[16:17], v[174:175]
	v_add_f64_e32 v[100:101], v[108:109], v[100:101]
	v_fma_f64 v[108:109], v[36:37], s[14:15], -v[176:177]
	s_delay_alu instid0(VALU_DEP_1) | instskip(SKIP_1) | instid1(VALU_DEP_1)
	v_add_f64_e32 v[98:99], v[108:109], v[98:99]
	v_fma_f64 v[108:109], v[32:33], s[14:15], v[178:179]
	;; [unrolled: 5-line block ×13, first 2 shown]
	v_add_f64_e32 v[102:103], v[102:103], v[108:109]
	v_fma_f64 v[108:109], v[20:21], s[10:11], -v[224:225]
	s_delay_alu instid0(VALU_DEP_1) | instskip(SKIP_1) | instid1(VALU_DEP_2)
	v_add_f64_e32 v[106:107], v[108:109], v[106:107]
	v_fma_f64 v[108:109], v[16:17], s[10:11], v[226:227]
	v_add_f64_e32 v[106:107], v[110:111], v[106:107]
	s_delay_alu instid0(VALU_DEP_2) | instskip(SKIP_2) | instid1(VALU_DEP_2)
	v_add_f64_e32 v[108:109], v[108:109], v[120:121]
	v_fma_f64 v[110:111], v[24:25], s[0:1], v[230:231]
	v_fma_f64 v[120:121], v[64:65], s[16:17], v[166:167]
	v_add_f64_e32 v[108:109], v[110:111], v[108:109]
	v_fma_f64 v[110:111], v[36:37], s[12:13], -v[232:233]
	s_delay_alu instid0(VALU_DEP_1) | instskip(SKIP_1) | instid1(VALU_DEP_1)
	v_add_f64_e32 v[106:107], v[110:111], v[106:107]
	v_fma_f64 v[110:111], v[32:33], s[12:13], v[234:235]
	v_add_f64_e32 v[108:109], v[110:111], v[108:109]
	v_fma_f64 v[110:111], v[44:45], s[18:19], -v[236:237]
	s_delay_alu instid0(VALU_DEP_1) | instskip(SKIP_1) | instid1(VALU_DEP_1)
	v_add_f64_e32 v[106:107], v[110:111], v[106:107]
	;; [unrolled: 5-line block ×5, first 2 shown]
	v_fma_f64 v[106:107], v[64:65], s[4:5], v[250:251]
	v_add_f64_e32 v[106:107], v[106:107], v[110:111]
	v_fma_f64 v[110:111], v[20:21], s[0:1], -v[252:253]
	s_delay_alu instid0(VALU_DEP_1) | instskip(SKIP_2) | instid1(VALU_DEP_2)
	v_add_f64_e32 v[110:111], v[110:111], v[152:153]
	v_mul_f64_e32 v[152:153], s[28:29], v[18:19]
	v_mul_f64_e32 v[18:19], s[44:45], v[18:19]
	v_fma_f64 v[112:113], v[16:17], s[0:1], v[152:153]
	s_delay_alu instid0(VALU_DEP_1) | instskip(SKIP_1) | instid1(VALU_DEP_1)
	v_add_f64_e32 v[112:113], v[112:113], v[118:119]
	v_fma_f64 v[118:119], v[28:29], s[12:13], -v[254:255]
	v_add_f64_e32 v[110:111], v[118:119], v[110:111]
	v_fma_f64 v[118:119], v[24:25], s[12:13], v[12:13]
	s_delay_alu instid0(VALU_DEP_1) | instskip(SKIP_1) | instid1(VALU_DEP_1)
	v_add_f64_e32 v[112:113], v[118:119], v[112:113]
	v_fma_f64 v[118:119], v[36:37], s[20:21], -v[154:155]
	v_add_f64_e32 v[110:111], v[118:119], v[110:111]
	;; [unrolled: 5-line block ×3, first 2 shown]
	v_fma_f64 v[118:119], v[40:41], s[16:17], v[146:147]
	s_delay_alu instid0(VALU_DEP_1) | instskip(SKIP_1) | instid1(VALU_DEP_2)
	v_add_f64_e32 v[112:113], v[118:119], v[112:113]
	v_fma_f64 v[118:119], v[52:53], s[4:5], -v[144:145]
	v_add_f64_e32 v[6:7], v[6:7], v[112:113]
	s_delay_alu instid0(VALU_DEP_2) | instskip(SKIP_3) | instid1(VALU_DEP_3)
	v_add_f64_e32 v[110:111], v[118:119], v[110:111]
	v_fma_f64 v[112:113], v[60:61], s[10:11], -v[4:5]
	v_mul_f64_e32 v[118:119], s[22:23], v[86:87]
	v_fma_f64 v[4:5], v[60:61], s[10:11], v[4:5]
	v_add_f64_e32 v[110:111], v[112:113], v[110:111]
	v_fma_f64 v[112:113], v[56:57], s[10:11], v[2:3]
	v_fma_f64 v[2:3], v[56:57], s[10:11], -v[2:3]
	s_delay_alu instid0(VALU_DEP_2) | instskip(NEXT) | instid1(VALU_DEP_4)
	v_add_f64_e32 v[6:7], v[112:113], v[6:7]
	v_add_f64_e32 v[112:113], v[10:11], v[110:111]
	v_mul_f64_e32 v[10:11], s[30:31], v[66:67]
	v_mul_f64_e32 v[66:67], s[22:23], v[66:67]
	s_delay_alu instid0(VALU_DEP_2) | instskip(NEXT) | instid1(VALU_DEP_1)
	v_fma_f64 v[80:81], v[64:65], s[18:19], v[10:11]
	v_add_f64_e32 v[110:111], v[80:81], v[6:7]
	v_mul_f64_e32 v[6:7], s[44:45], v[22:23]
	v_fma_f64 v[80:81], v[16:17], s[4:5], v[18:19]
	v_fma_f64 v[18:19], v[16:17], s[4:5], -v[18:19]
	s_delay_alu instid0(VALU_DEP_3) | instskip(NEXT) | instid1(VALU_DEP_3)
	v_fma_f64 v[22:23], v[20:21], s[4:5], -v[6:7]
	v_add_f64_e32 v[80:81], v[80:81], v[116:117]
	v_fma_f64 v[6:7], v[20:21], s[4:5], v[6:7]
	s_delay_alu instid0(VALU_DEP_4) | instskip(NEXT) | instid1(VALU_DEP_4)
	v_add_f64_e32 v[18:19], v[18:19], v[130:131]
	v_add_f64_e32 v[22:23], v[22:23], v[114:115]
	v_fma_f64 v[114:115], v[28:29], s[18:19], -v[30:31]
	s_delay_alu instid0(VALU_DEP_1) | instskip(SKIP_1) | instid1(VALU_DEP_1)
	v_add_f64_e32 v[22:23], v[114:115], v[22:23]
	v_fma_f64 v[114:115], v[24:25], s[18:19], v[26:27]
	v_add_f64_e32 v[80:81], v[114:115], v[80:81]
	v_fma_f64 v[114:115], v[36:37], s[16:17], -v[38:39]
	s_delay_alu instid0(VALU_DEP_1) | instskip(SKIP_1) | instid1(VALU_DEP_1)
	v_add_f64_e32 v[22:23], v[114:115], v[22:23]
	v_fma_f64 v[114:115], v[32:33], s[16:17], v[34:35]
	;; [unrolled: 5-line block ×6, first 2 shown]
	v_add_f64_e32 v[114:115], v[22:23], v[80:81]
	v_fma_f64 v[22:23], v[20:21], s[12:13], -v[122:123]
	v_fma_f64 v[80:81], v[16:17], s[12:13], v[124:125]
	s_delay_alu instid0(VALU_DEP_2) | instskip(SKIP_2) | instid1(VALU_DEP_3)
	v_add_f64_e32 v[22:23], v[22:23], v[82:83]
	v_fma_f64 v[82:83], v[28:29], s[20:21], -v[126:127]
	s_wait_loadcnt 0x0
	v_add_f64_e32 v[80:81], v[80:81], v[14:15]
	scratch_load_b64 v[14:15], off, off offset:88 th:TH_LOAD_LU ; 8-byte Folded Reload
	v_add_f64_e32 v[22:23], v[82:83], v[22:23]
	v_fma_f64 v[82:83], v[24:25], s[20:21], v[128:129]
	s_delay_alu instid0(VALU_DEP_1) | instskip(SKIP_1) | instid1(VALU_DEP_1)
	v_add_f64_e32 v[80:81], v[82:83], v[80:81]
	v_fma_f64 v[82:83], v[36:37], s[4:5], -v[136:137]
	v_add_f64_e32 v[22:23], v[82:83], v[22:23]
	v_fma_f64 v[82:83], v[32:33], s[4:5], v[138:139]
	s_delay_alu instid0(VALU_DEP_1) | instskip(SKIP_1) | instid1(VALU_DEP_1)
	v_add_f64_e32 v[80:81], v[82:83], v[80:81]
	v_fma_f64 v[82:83], v[44:45], s[14:15], -v[140:141]
	;; [unrolled: 5-line block ×3, first 2 shown]
	v_add_f64_e32 v[22:23], v[82:83], v[22:23]
	v_fma_f64 v[82:83], v[48:49], s[18:19], v[158:159]
	s_delay_alu instid0(VALU_DEP_1) | instskip(SKIP_3) | instid1(VALU_DEP_2)
	v_add_f64_e32 v[80:81], v[82:83], v[80:81]
	v_fma_f64 v[82:83], v[60:61], s[0:1], -v[160:161]
	s_wait_loadcnt 0x0
	v_add_f64_e32 v[6:7], v[6:7], v[14:15]
	v_add_f64_e32 v[22:23], v[82:83], v[22:23]
	v_fma_f64 v[82:83], v[56:57], s[0:1], v[162:163]
	s_delay_alu instid0(VALU_DEP_1) | instskip(SKIP_1) | instid1(VALU_DEP_2)
	v_add_f64_e32 v[80:81], v[82:83], v[80:81]
	v_fma_f64 v[82:83], v[74:75], s[16:17], -v[164:165]
	v_add_f64_e32 v[136:137], v[120:121], v[80:81]
	s_delay_alu instid0(VALU_DEP_2) | instskip(SKIP_1) | instid1(VALU_DEP_1)
	v_add_f64_e32 v[138:139], v[82:83], v[22:23]
	v_fma_f64 v[22:23], v[28:29], s[18:19], v[30:31]
	v_add_f64_e32 v[6:7], v[22:23], v[6:7]
	v_fma_f64 v[22:23], v[24:25], s[18:19], -v[26:27]
	v_fma_f64 v[26:27], v[64:65], s[10:11], -v[66:67]
	s_delay_alu instid0(VALU_DEP_2) | instskip(SKIP_1) | instid1(VALU_DEP_1)
	v_add_f64_e32 v[18:19], v[22:23], v[18:19]
	v_fma_f64 v[22:23], v[36:37], s[16:17], v[38:39]
	v_add_f64_e32 v[6:7], v[22:23], v[6:7]
	v_fma_f64 v[22:23], v[32:33], s[16:17], -v[34:35]
	s_delay_alu instid0(VALU_DEP_1) | instskip(SKIP_1) | instid1(VALU_DEP_1)
	v_add_f64_e32 v[18:19], v[22:23], v[18:19]
	v_fma_f64 v[22:23], v[44:45], s[0:1], v[46:47]
	v_add_f64_e32 v[6:7], v[22:23], v[6:7]
	v_fma_f64 v[22:23], v[40:41], s[0:1], -v[42:43]
	s_delay_alu instid0(VALU_DEP_1) | instskip(SKIP_1) | instid1(VALU_DEP_1)
	;; [unrolled: 5-line block ×3, first 2 shown]
	v_add_f64_e32 v[18:19], v[22:23], v[18:19]
	v_fma_f64 v[22:23], v[60:61], s[20:21], v[62:63]
	v_add_f64_e32 v[6:7], v[22:23], v[6:7]
	v_fma_f64 v[22:23], v[56:57], s[20:21], -v[58:59]
	s_delay_alu instid0(VALU_DEP_1) | instskip(SKIP_1) | instid1(VALU_DEP_2)
	v_add_f64_e32 v[18:19], v[22:23], v[18:19]
	v_fma_f64 v[22:23], v[74:75], s[10:11], v[118:119]
	v_add_f64_e32 v[122:123], v[26:27], v[18:19]
	s_delay_alu instid0(VALU_DEP_2) | instskip(SKIP_3) | instid1(VALU_DEP_3)
	v_add_f64_e32 v[124:125], v[22:23], v[6:7]
	v_fma_f64 v[6:7], v[20:21], s[0:1], v[252:253]
	v_fma_f64 v[18:19], v[16:17], s[0:1], -v[152:153]
	v_fma_f64 v[22:23], v[28:29], s[12:13], v[254:255]
	v_add_f64_e32 v[6:7], v[6:7], v[84:85]
	s_delay_alu instid0(VALU_DEP_3) | instskip(NEXT) | instid1(VALU_DEP_2)
	v_add_f64_e32 v[18:19], v[18:19], v[132:133]
	v_add_f64_e32 v[6:7], v[22:23], v[6:7]
	v_fma_f64 v[22:23], v[24:25], s[12:13], -v[12:13]
	s_delay_alu instid0(VALU_DEP_1) | instskip(SKIP_1) | instid1(VALU_DEP_1)
	v_add_f64_e32 v[18:19], v[22:23], v[18:19]
	v_fma_f64 v[22:23], v[36:37], s[20:21], v[154:155]
	v_add_f64_e32 v[6:7], v[22:23], v[6:7]
	v_fma_f64 v[22:23], v[32:33], s[20:21], -v[150:151]
	s_delay_alu instid0(VALU_DEP_1) | instskip(SKIP_1) | instid1(VALU_DEP_1)
	v_add_f64_e32 v[18:19], v[22:23], v[18:19]
	v_fma_f64 v[22:23], v[44:45], s[16:17], v[148:149]
	v_add_f64_e32 v[6:7], v[22:23], v[6:7]
	v_fma_f64 v[22:23], v[40:41], s[16:17], -v[146:147]
	s_delay_alu instid0(VALU_DEP_1) | instskip(SKIP_1) | instid1(VALU_DEP_2)
	v_add_f64_e32 v[18:19], v[22:23], v[18:19]
	v_fma_f64 v[22:23], v[52:53], s[4:5], v[144:145]
	v_add_f64_e32 v[8:9], v[8:9], v[18:19]
	s_delay_alu instid0(VALU_DEP_2) | instskip(NEXT) | instid1(VALU_DEP_2)
	v_add_f64_e32 v[6:7], v[22:23], v[6:7]
	v_add_f64_e32 v[2:3], v[2:3], v[8:9]
	s_delay_alu instid0(VALU_DEP_2)
	v_add_f64_e32 v[4:5], v[4:5], v[6:7]
	v_fma_f64 v[6:7], v[64:65], s[18:19], -v[10:11]
	scratch_load_b64 v[8:9], off, off offset:32 th:TH_LOAD_LU ; 8-byte Folded Reload
	v_add_f64_e32 v[128:129], v[0:1], v[4:5]
	v_add_f64_e32 v[126:127], v[6:7], v[2:3]
	scratch_load_b64 v[2:3], off, off offset:80 th:TH_LOAD_LU ; 8-byte Folded Reload
	v_fma_f64 v[0:1], v[20:21], s[10:11], v[224:225]
	v_fma_f64 v[4:5], v[28:29], s[0:1], v[228:229]
	v_fma_f64 v[6:7], v[64:65], s[4:5], -v[250:251]
	s_wait_loadcnt 0x0
	s_delay_alu instid0(VALU_DEP_3) | instskip(SKIP_1) | instid1(VALU_DEP_2)
	v_add_f64_e32 v[0:1], v[0:1], v[2:3]
	v_fma_f64 v[2:3], v[16:17], s[10:11], -v[226:227]
	v_add_f64_e32 v[0:1], v[4:5], v[0:1]
	s_delay_alu instid0(VALU_DEP_2) | instskip(SKIP_1) | instid1(VALU_DEP_1)
	v_add_f64_e32 v[2:3], v[2:3], v[134:135]
	v_fma_f64 v[4:5], v[24:25], s[0:1], -v[230:231]
	v_add_f64_e32 v[2:3], v[4:5], v[2:3]
	v_fma_f64 v[4:5], v[36:37], s[12:13], v[232:233]
	s_delay_alu instid0(VALU_DEP_1) | instskip(SKIP_1) | instid1(VALU_DEP_1)
	v_add_f64_e32 v[0:1], v[4:5], v[0:1]
	v_fma_f64 v[4:5], v[32:33], s[12:13], -v[234:235]
	v_add_f64_e32 v[2:3], v[4:5], v[2:3]
	v_fma_f64 v[4:5], v[44:45], s[18:19], v[236:237]
	s_delay_alu instid0(VALU_DEP_1) | instskip(SKIP_1) | instid1(VALU_DEP_1)
	;; [unrolled: 5-line block ×4, first 2 shown]
	v_add_f64_e32 v[0:1], v[4:5], v[0:1]
	v_fma_f64 v[4:5], v[56:57], s[14:15], -v[246:247]
	v_add_f64_e32 v[2:3], v[4:5], v[2:3]
	v_fma_f64 v[4:5], v[74:75], s[4:5], v[248:249]
	s_delay_alu instid0(VALU_DEP_2)
	v_add_f64_e32 v[130:131], v[6:7], v[2:3]
	scratch_load_b64 v[2:3], off, off offset:72 th:TH_LOAD_LU ; 8-byte Folded Reload
	v_add_f64_e32 v[132:133], v[4:5], v[0:1]
	scratch_load_b64 v[4:5], off, off offset:64 th:TH_LOAD_LU ; 8-byte Folded Reload
	v_fma_f64 v[0:1], v[20:21], s[14:15], v[196:197]
	v_fma_f64 v[6:7], v[64:65], s[20:21], -v[222:223]
	s_wait_loadcnt 0x1
	s_delay_alu instid0(VALU_DEP_2) | instskip(SKIP_2) | instid1(VALU_DEP_1)
	v_add_f64_e32 v[0:1], v[0:1], v[2:3]
	v_fma_f64 v[2:3], v[16:17], s[14:15], -v[198:199]
	s_wait_loadcnt 0x0
	v_add_f64_e32 v[2:3], v[2:3], v[4:5]
	v_fma_f64 v[4:5], v[28:29], s[10:11], v[200:201]
	s_delay_alu instid0(VALU_DEP_1) | instskip(SKIP_1) | instid1(VALU_DEP_1)
	v_add_f64_e32 v[0:1], v[4:5], v[0:1]
	v_fma_f64 v[4:5], v[24:25], s[10:11], -v[202:203]
	v_add_f64_e32 v[2:3], v[4:5], v[2:3]
	v_fma_f64 v[4:5], v[36:37], s[0:1], v[204:205]
	s_delay_alu instid0(VALU_DEP_1) | instskip(SKIP_1) | instid1(VALU_DEP_1)
	v_add_f64_e32 v[0:1], v[4:5], v[0:1]
	v_fma_f64 v[4:5], v[32:33], s[0:1], -v[206:207]
	;; [unrolled: 5-line block ×5, first 2 shown]
	v_add_f64_e32 v[2:3], v[4:5], v[2:3]
	v_fma_f64 v[4:5], v[74:75], s[20:21], v[220:221]
	s_delay_alu instid0(VALU_DEP_2)
	v_add_f64_e32 v[82:83], v[6:7], v[2:3]
	scratch_load_b64 v[6:7], off, off offset:40 th:TH_LOAD_LU ; 8-byte Folded Reload
	v_add_f64_e32 v[84:85], v[4:5], v[0:1]
	v_fma_f64 v[0:1], v[20:21], s[18:19], v[168:169]
	v_fma_f64 v[2:3], v[16:17], s[18:19], -v[170:171]
	v_fma_f64 v[4:5], v[28:29], s[16:17], v[172:173]
	s_delay_alu instid0(VALU_DEP_2) | instskip(SKIP_4) | instid1(VALU_DEP_2)
	v_add_f64_e32 v[2:3], v[2:3], v[8:9]
	v_fma_f64 v[8:9], v[36:37], s[14:15], v[176:177]
	s_wait_loadcnt 0x0
	v_add_f64_e32 v[0:1], v[0:1], v[6:7]
	v_fma_f64 v[6:7], v[24:25], s[16:17], -v[174:175]
	v_add_f64_e32 v[0:1], v[4:5], v[0:1]
	v_fma_f64 v[4:5], v[32:33], s[14:15], -v[178:179]
	s_delay_alu instid0(VALU_DEP_3) | instskip(SKIP_1) | instid1(VALU_DEP_4)
	v_add_f64_e32 v[2:3], v[6:7], v[2:3]
	v_fma_f64 v[6:7], v[44:45], s[12:13], v[180:181]
	v_add_f64_e32 v[0:1], v[8:9], v[0:1]
	v_fma_f64 v[8:9], v[40:41], s[12:13], -v[182:183]
	s_delay_alu instid0(VALU_DEP_4) | instskip(SKIP_1) | instid1(VALU_DEP_4)
	v_add_f64_e32 v[2:3], v[4:5], v[2:3]
	v_fma_f64 v[4:5], v[52:53], s[10:11], v[184:185]
	v_add_f64_e32 v[0:1], v[6:7], v[0:1]
	v_fma_f64 v[6:7], v[48:49], s[10:11], -v[186:187]
	s_delay_alu instid0(VALU_DEP_4) | instskip(SKIP_1) | instid1(VALU_DEP_4)
	v_add_f64_e32 v[2:3], v[8:9], v[2:3]
	v_fma_f64 v[8:9], v[60:61], s[4:5], v[188:189]
	v_add_f64_e32 v[0:1], v[4:5], v[0:1]
	v_fma_f64 v[4:5], v[56:57], s[4:5], -v[190:191]
	s_delay_alu instid0(VALU_DEP_4) | instskip(SKIP_1) | instid1(VALU_DEP_4)
	v_add_f64_e32 v[2:3], v[6:7], v[2:3]
	v_fma_f64 v[6:7], v[74:75], s[0:1], v[192:193]
	v_add_f64_e32 v[0:1], v[8:9], v[0:1]
	v_fma_f64 v[8:9], v[64:65], s[0:1], -v[194:195]
	s_delay_alu instid0(VALU_DEP_4) | instskip(NEXT) | instid1(VALU_DEP_3)
	v_add_f64_e32 v[2:3], v[4:5], v[2:3]
	v_add_f64_e32 v[18:19], v[6:7], v[0:1]
	v_mul_u32_u24_e32 v0, 0x110, v70
	s_delay_alu instid0(VALU_DEP_3)
	v_add_f64_e32 v[16:17], v[8:9], v[2:3]
	scratch_load_b128 v[1:4], off, off th:TH_LOAD_LU ; 16-byte Folded Reload
	v_add3_u32 v0, 0, v0, v89
	s_wait_loadcnt 0x0
	ds_store_b128 v0, v[1:4]
	ds_store_b128 v0, v[98:101] offset:16
	ds_store_b128 v0, v[102:105] offset:32
	;; [unrolled: 1-line block ×7, first 2 shown]
	scratch_load_b128 v[1:4], off, off offset:48 th:TH_LOAD_LU ; 16-byte Folded Reload
	v_dual_mov_b32 v112, v71 :: v_dual_lshlrev_b32 v71, 4, v70
	v_add_nc_u32_e32 v111, 0, v89
	s_wait_loadcnt 0x0
	ds_store_b128 v0, v[1:4] offset:128
	scratch_load_b128 v[1:4], off, off offset:16 th:TH_LOAD_LU ; 16-byte Folded Reload
	s_wait_loadcnt 0x0
	ds_store_b128 v0, v[1:4] offset:144
	ds_store_b128 v0, v[76:79] offset:160
	;; [unrolled: 1-line block ×8, first 2 shown]
.LBB0_15:
	s_or_b32 exec_lo, exec_lo, s33
	v_add_nc_u16 v0, v70, 0x66
	v_and_b32_e32 v2, 0xff, v70
	v_add_nc_u32_e32 v3, 0xcc, v70
	v_add_nc_u32_e32 v4, 0x132, v70
	s_load_b64 s[2:3], s[2:3], 0x0
	v_and_b32_e32 v1, 0xff, v0
	v_mul_lo_u16 v2, 0xf1, v2
	v_and_b32_e32 v5, 0xffff, v3
	global_wb scope:SCOPE_SE
	s_wait_storecnt_dscnt 0x0
	s_wait_kmcnt 0x0
	s_barrier_signal -1
	v_mul_lo_u16 v7, 0xf1, v1
	v_lshrrev_b16 v6, 12, v2
	v_and_b32_e32 v2, 0xffff, v4
	v_mul_u32_u24_e32 v8, 0xf0f1, v5
	s_barrier_wait -1
	v_lshrrev_b16 v7, 12, v7
	v_mul_lo_u16 v10, v6, 17
	v_mul_u32_u24_e32 v2, 0xf0f1, v2
	v_lshrrev_b32_e32 v9, 20, v8
	global_inv scope:SCOPE_SE
	v_mul_lo_u16 v8, v7, 17
	v_sub_nc_u16 v10, v70, v10
	v_lshrrev_b32_e32 v12, 20, v2
	v_mul_lo_u16 v2, v9, 17
	s_mov_b32 s10, 0xe8584caa
	v_sub_nc_u16 v8, v0, v8
	v_and_b32_e32 v10, 0xff, v10
	v_mul_lo_u16 v11, v12, 17
	v_sub_nc_u16 v2, v3, v2
	s_mov_b32 s11, 0xbfebb67a
	v_and_b32_e32 v8, 0xff, v8
	v_lshlrev_b32_e32 v13, 5, v10
	v_sub_nc_u16 v4, v4, v11
	v_and_b32_e32 v11, 0xffff, v2
	s_mov_b32 s5, 0x3febb67a
	v_lshlrev_b32_e32 v2, 5, v8
	s_clause 0x1
	global_load_b128 v[14:17], v13, s[8:9]
	global_load_b128 v[18:21], v13, s[8:9] offset:16
	v_and_b32_e32 v13, 0xffff, v4
	v_lshlrev_b32_e32 v4, 5, v11
	s_wait_alu 0xfffe
	s_mov_b32 s4, s10
	s_clause 0x1
	global_load_b128 v[22:25], v2, s[8:9]
	global_load_b128 v[26:29], v2, s[8:9] offset:16
	v_cmp_gt_u32_e64 s0, 51, v70
	v_lshlrev_b32_e32 v2, 5, v13
	s_clause 0x3
	global_load_b128 v[30:33], v4, s[8:9]
	global_load_b128 v[34:37], v4, s[8:9] offset:16
	global_load_b128 v[38:41], v2, s[8:9]
	global_load_b128 v[42:45], v2, s[8:9] offset:16
	ds_load_b128 v[46:49], v88 offset:6528
	ds_load_b128 v[50:53], v88 offset:13056
	;; [unrolled: 1-line block ×8, first 2 shown]
	v_subrev_nc_u32_e32 v2, 51, v70
	v_and_b32_e32 v7, 0xffff, v7
	v_lshlrev_b32_e32 v10, 4, v10
	v_mad_u32_u24 v9, 0x330, v9, 0
	v_mad_u32_u24 v12, 0x330, v12, 0
	s_wait_alu 0xf1ff
	v_cndmask_b32_e64 v4, v2, v70, s0
	v_mov_b32_e32 v2, 0
	s_mov_b32 s1, exec_lo
	s_wait_loadcnt_dscnt 0x707
	v_mul_f64_e32 v[66:67], v[48:49], v[16:17]
	v_mul_f64_e32 v[16:17], v[46:47], v[16:17]
	s_wait_loadcnt_dscnt 0x606
	v_mul_f64_e32 v[86:87], v[52:53], v[20:21]
	v_mul_f64_e32 v[20:21], v[50:51], v[20:21]
	;; [unrolled: 3-line block ×4, first 2 shown]
	s_wait_loadcnt_dscnt 0x303
	v_mul_f64_e32 v[94:95], v[64:65], v[32:33]
	s_wait_loadcnt_dscnt 0x202
	v_mul_f64_e32 v[96:97], v[76:77], v[36:37]
	v_mul_f64_e32 v[32:33], v[62:63], v[32:33]
	;; [unrolled: 1-line block ×3, first 2 shown]
	s_wait_loadcnt_dscnt 0x101
	v_mul_f64_e32 v[98:99], v[80:81], v[40:41]
	v_mul_f64_e32 v[40:41], v[78:79], v[40:41]
	s_wait_loadcnt_dscnt 0x0
	v_mul_f64_e32 v[100:101], v[84:85], v[44:45]
	v_mul_f64_e32 v[44:45], v[82:83], v[44:45]
	v_fma_f64 v[46:47], v[46:47], v[14:15], v[66:67]
	v_fma_f64 v[48:49], v[48:49], v[14:15], -v[16:17]
	v_fma_f64 v[50:51], v[50:51], v[18:19], v[86:87]
	v_fma_f64 v[52:53], v[52:53], v[18:19], -v[20:21]
	;; [unrolled: 2-line block ×4, first 2 shown]
	v_fma_f64 v[62:63], v[62:63], v[30:31], v[94:95]
	v_fma_f64 v[66:67], v[74:75], v[34:35], v[96:97]
	v_fma_f64 v[30:31], v[64:65], v[30:31], -v[32:33]
	v_fma_f64 v[32:33], v[76:77], v[34:35], -v[36:37]
	v_fma_f64 v[34:35], v[78:79], v[38:39], v[98:99]
	v_fma_f64 v[36:37], v[80:81], v[38:39], -v[40:41]
	v_fma_f64 v[38:39], v[82:83], v[42:43], v[100:101]
	v_fma_f64 v[40:41], v[84:85], v[42:43], -v[44:45]
	ds_load_b128 v[14:17], v112
	ds_load_b128 v[18:21], v88 offset:1632
	ds_load_b128 v[22:25], v88 offset:3264
	;; [unrolled: 1-line block ×3, first 2 shown]
	global_wb scope:SCOPE_SE
	s_wait_dscnt 0x0
	s_barrier_signal -1
	s_barrier_wait -1
	global_inv scope:SCOPE_SE
	v_add_f64_e32 v[84:85], v[14:15], v[46:47]
	v_add_f64_e32 v[42:43], v[46:47], v[50:51]
	;; [unrolled: 1-line block ×3, first 2 shown]
	v_add_f64_e64 v[86:87], v[48:49], -v[52:53]
	v_add_f64_e32 v[48:49], v[16:17], v[48:49]
	v_add_f64_e32 v[64:65], v[54:55], v[58:59]
	;; [unrolled: 1-line block ×3, first 2 shown]
	v_add_f64_e64 v[46:47], v[46:47], -v[50:51]
	v_add_f64_e32 v[76:77], v[62:63], v[66:67]
	v_add_f64_e32 v[96:97], v[24:25], v[30:31]
	;; [unrolled: 1-line block ×9, first 2 shown]
	v_add_f64_e64 v[56:57], v[56:57], -v[60:61]
	v_add_f64_e64 v[54:55], v[54:55], -v[58:59]
	v_add_f64_e32 v[94:95], v[22:23], v[62:63]
	v_add_f64_e64 v[102:103], v[30:31], -v[32:33]
	v_add_f64_e64 v[62:63], v[62:63], -v[66:67]
	;; [unrolled: 1-line block ×4, first 2 shown]
	v_fma_f64 v[42:43], v[42:43], -0.5, v[14:15]
	v_fma_f64 v[44:45], v[44:45], -0.5, v[16:17]
	v_mul_lo_u16 v14, 0xa1, v1
	v_mul_u32_u24_e32 v15, 0xa0a1, v5
	v_fma_f64 v[64:65], v[64:65], -0.5, v[18:19]
	v_fma_f64 v[74:75], v[74:75], -0.5, v[20:21]
	v_and_b32_e32 v16, 0xffff, v6
	v_fma_f64 v[76:77], v[76:77], -0.5, v[22:23]
	v_lshrrev_b16 v108, 13, v14
	v_fma_f64 v[78:79], v[78:79], -0.5, v[24:25]
	v_lshrrev_b32_e32 v109, 21, v15
	v_mad_u32_u24 v110, 0x330, v16, 0
	v_fma_f64 v[80:81], v[80:81], -0.5, v[26:27]
	v_fma_f64 v[82:83], v[82:83], -0.5, v[28:29]
	v_add_f64_e32 v[14:15], v[84:85], v[50:51]
	v_add_f64_e32 v[16:17], v[48:49], v[52:53]
	;; [unrolled: 1-line block ×8, first 2 shown]
	v_mul_i32_i24_e32 v1, 3, v4
	v_lshlrev_b32_e32 v4, 4, v4
	s_delay_alu instid0(VALU_DEP_2)
	v_lshlrev_b64_e32 v[5:6], 4, v[1:2]
	v_mul_lo_u16 v1, v108, 51
	v_fma_f64 v[30:31], v[86:87], s[10:11], v[42:43]
	s_wait_alu 0xfffe
	v_fma_f64 v[32:33], v[46:47], s[4:5], v[44:45]
	v_fma_f64 v[34:35], v[86:87], s[4:5], v[42:43]
	;; [unrolled: 1-line block ×15, first 2 shown]
	v_mul_lo_u16 v62, v109, 51
	v_sub_nc_u16 v63, v0, v1
	v_add_co_u32 v0, s0, s8, v5
	v_mad_u32_u24 v5, 0x330, v7, 0
	s_delay_alu instid0(VALU_DEP_4) | instskip(NEXT) | instid1(VALU_DEP_4)
	v_sub_nc_u16 v3, v3, v62
	v_and_b32_e32 v67, 0xff, v63
	v_lshlrev_b32_e32 v7, 4, v8
	s_wait_alu 0xf1ff
	v_add_co_ci_u32_e64 v1, s0, s9, v6, s0
	v_and_b32_e32 v3, 0xffff, v3
	v_add3_u32 v6, v110, v10, v89
	v_lshlrev_b32_e32 v8, 4, v11
	v_lshlrev_b32_e32 v10, 4, v13
	v_mul_u32_u24_e32 v13, 3, v67
	v_add3_u32 v5, v5, v7, v89
	v_cmp_lt_u32_e64 s0, 50, v70
	v_add3_u32 v7, v9, v8, v89
	v_add3_u32 v8, v12, v10, v89
	ds_store_b128 v6, v[14:17]
	ds_store_b128 v6, v[30:33] offset:272
	ds_store_b128 v6, v[34:37] offset:544
	ds_store_b128 v5, v[18:21]
	ds_store_b128 v5, v[38:41] offset:272
	ds_store_b128 v5, v[42:45] offset:544
	;; [unrolled: 3-line block ×4, first 2 shown]
	v_lshlrev_b32_e32 v25, 4, v13
	v_mul_u32_u24_e32 v21, 3, v3
	global_wb scope:SCOPE_SE
	s_wait_dscnt 0x0
	s_barrier_signal -1
	s_barrier_wait -1
	global_inv scope:SCOPE_SE
	s_clause 0x3
	global_load_b128 v[5:8], v[0:1], off offset:560
	global_load_b128 v[9:12], v[0:1], off offset:544
	global_load_b128 v[13:16], v[0:1], off offset:576
	global_load_b128 v[17:20], v25, s[8:9] offset:544
	v_lshlrev_b32_e32 v0, 4, v21
	s_clause 0x4
	global_load_b128 v[21:24], v25, s[8:9] offset:560
	global_load_b128 v[25:28], v25, s[8:9] offset:576
	global_load_b128 v[29:32], v0, s[8:9] offset:544
	global_load_b128 v[33:36], v0, s[8:9] offset:560
	global_load_b128 v[37:40], v0, s[8:9] offset:576
	ds_load_b128 v[41:44], v88 offset:4896
	ds_load_b128 v[45:48], v88 offset:9792
	;; [unrolled: 1-line block ×10, first 2 shown]
	v_lshlrev_b32_e32 v3, 4, v3
	s_wait_loadcnt_dscnt 0x808
	v_mul_f64_e32 v[65:66], v[47:48], v[7:8]
	s_wait_loadcnt 0x7
	v_mul_f64_e32 v[0:1], v[43:44], v[11:12]
	v_mul_f64_e32 v[11:12], v[41:42], v[11:12]
	;; [unrolled: 1-line block ×3, first 2 shown]
	s_wait_loadcnt_dscnt 0x607
	v_mul_f64_e32 v[86:87], v[51:52], v[15:16]
	v_mul_f64_e32 v[15:16], v[49:50], v[15:16]
	s_wait_loadcnt_dscnt 0x506
	v_mul_f64_e32 v[94:95], v[55:56], v[19:20]
	v_mul_f64_e32 v[19:20], v[53:54], v[19:20]
	;; [unrolled: 3-line block ×7, first 2 shown]
	v_fma_f64 v[0:1], v[41:42], v[9:10], v[0:1]
	v_fma_f64 v[41:42], v[43:44], v[9:10], -v[11:12]
	v_fma_f64 v[43:44], v[45:46], v[5:6], v[65:66]
	v_fma_f64 v[45:46], v[47:48], v[5:6], -v[7:8]
	;; [unrolled: 2-line block ×9, first 2 shown]
	ds_load_b128 v[5:8], v112
	ds_load_b128 v[9:12], v88 offset:1632
	global_wb scope:SCOPE_SE
	s_wait_dscnt 0x0
	s_barrier_signal -1
	s_barrier_wait -1
	global_inv scope:SCOPE_SE
	v_add_f64_e64 v[39:40], v[5:6], -v[43:44]
	v_add_f64_e64 v[43:44], v[7:8], -v[45:46]
	;; [unrolled: 1-line block ×12, first 2 shown]
	v_fma_f64 v[35:36], v[5:6], 2.0, -v[39:40]
	v_fma_f64 v[55:56], v[7:8], 2.0, -v[43:44]
	;; [unrolled: 1-line block ×4, first 2 shown]
	v_add_f64_e32 v[5:6], v[39:40], v[13:14]
	v_add_f64_e64 v[7:8], v[43:44], -v[45:46]
	v_fma_f64 v[41:42], v[9:10], 2.0, -v[47:48]
	v_fma_f64 v[57:58], v[11:12], 2.0, -v[49:50]
	;; [unrolled: 1-line block ×4, first 2 shown]
	v_add_f64_e32 v[9:10], v[47:48], v[19:20]
	v_fma_f64 v[59:60], v[90:91], 2.0, -v[51:52]
	v_fma_f64 v[61:62], v[92:93], 2.0, -v[53:54]
	;; [unrolled: 1-line block ×4, first 2 shown]
	v_add_f64_e64 v[23:24], v[53:54], -v[23:24]
	v_add_f64_e64 v[13:14], v[35:36], -v[0:1]
	;; [unrolled: 1-line block ×3, first 2 shown]
	s_wait_alu 0xf1ff
	v_cndmask_b32_e64 v0, 0, 0xcc0, s0
	v_fma_f64 v[31:32], v[43:44], 2.0, -v[7:8]
	v_and_b32_e32 v1, 0xffff, v108
	v_add_f64_e64 v[17:18], v[41:42], -v[11:12]
	v_add_f64_e64 v[19:20], v[57:58], -v[33:34]
	;; [unrolled: 1-line block ×3, first 2 shown]
	v_add_f64_e32 v[21:22], v[51:52], v[25:26]
	v_fma_f64 v[33:34], v[47:48], 2.0, -v[9:10]
	v_add_nc_u32_e32 v0, 0, v0
	v_add_f64_e64 v[25:26], v[59:60], -v[27:28]
	v_add_f64_e64 v[27:28], v[61:62], -v[29:30]
	v_fma_f64 v[29:30], v[39:40], 2.0, -v[5:6]
	v_fma_f64 v[47:48], v[53:54], 2.0, -v[23:24]
	v_mul_u32_u24_e32 v53, 5, v70
	v_mad_u32_u24 v54, 0xcc0, v109, 0
	v_mad_u32_u24 v1, 0xcc0, v1, 0
	v_add3_u32 v0, v0, v4, v89
	s_delay_alu instid0(VALU_DEP_4) | instskip(NEXT) | instid1(VALU_DEP_4)
	v_lshlrev_b32_e32 v53, 4, v53
	v_add3_u32 v3, v54, v3, v89
	v_fma_f64 v[37:38], v[35:36], 2.0, -v[13:14]
	v_fma_f64 v[39:40], v[55:56], 2.0, -v[15:16]
	v_lshlrev_b32_e32 v55, 4, v67
	v_fma_f64 v[41:42], v[41:42], 2.0, -v[17:18]
	v_fma_f64 v[43:44], v[57:58], 2.0, -v[19:20]
	;; [unrolled: 1-line block ×4, first 2 shown]
	v_add3_u32 v1, v1, v55, v89
	v_fma_f64 v[49:50], v[59:60], 2.0, -v[25:26]
	v_fma_f64 v[51:52], v[61:62], 2.0, -v[27:28]
	ds_store_b128 v0, v[13:16] offset:1632
	ds_store_b128 v0, v[5:8] offset:2448
	ds_store_b128 v0, v[37:40]
	ds_store_b128 v0, v[29:32] offset:816
	ds_store_b128 v1, v[41:44]
	ds_store_b128 v1, v[33:36] offset:816
	ds_store_b128 v1, v[17:20] offset:1632
	;; [unrolled: 1-line block ×3, first 2 shown]
	ds_store_b128 v3, v[49:52]
	ds_store_b128 v3, v[45:48] offset:816
	ds_store_b128 v3, v[25:28] offset:1632
	ds_store_b128 v3, v[21:24] offset:2448
	global_wb scope:SCOPE_SE
	s_wait_dscnt 0x0
	s_barrier_signal -1
	s_barrier_wait -1
	global_inv scope:SCOPE_SE
	s_clause 0x9
	global_load_b128 v[3:6], v53, s[8:9] offset:3024
	global_load_b128 v[7:10], v53, s[8:9] offset:3056
	;; [unrolled: 1-line block ×10, first 2 shown]
	ds_load_b128 v[43:46], v88 offset:9792
	ds_load_b128 v[47:50], v88 offset:16320
	;; [unrolled: 1-line block ×6, first 2 shown]
	s_wait_loadcnt_dscnt 0x905
	v_mul_f64_e32 v[0:1], v[43:44], v[5:6]
	s_wait_loadcnt_dscnt 0x804
	v_mul_f64_e32 v[74:75], v[47:48], v[9:10]
	;; [unrolled: 2-line block ×5, first 2 shown]
	v_mul_f64_e32 v[5:6], v[45:46], v[5:6]
	v_mul_f64_e32 v[9:10], v[49:50], v[9:10]
	;; [unrolled: 1-line block ×5, first 2 shown]
	v_fma_f64 v[0:1], v[45:46], v[3:4], -v[0:1]
	v_fma_f64 v[45:46], v[49:50], v[7:8], -v[74:75]
	s_wait_loadcnt_dscnt 0x400
	v_mul_f64_e32 v[49:50], v[63:64], v[25:26]
	v_fma_f64 v[53:54], v[53:54], v[11:12], -v[76:77]
	v_fma_f64 v[57:58], v[57:58], v[15:16], -v[78:79]
	ds_load_b128 v[74:77], v88 offset:6528
	ds_load_b128 v[78:81], v88 offset:13056
	;; [unrolled: 1-line block ×4, first 2 shown]
	v_fma_f64 v[43:44], v[43:44], v[3:4], v[5:6]
	v_fma_f64 v[47:48], v[47:48], v[7:8], v[9:10]
	v_fma_f64 v[61:62], v[61:62], v[19:20], -v[86:87]
	v_mul_f64_e32 v[25:26], v[65:66], v[25:26]
	v_fma_f64 v[11:12], v[51:52], v[11:12], v[13:14]
	v_fma_f64 v[13:14], v[55:56], v[15:16], v[17:18]
	;; [unrolled: 1-line block ×3, first 2 shown]
	s_wait_loadcnt_dscnt 0x303
	v_mul_f64_e32 v[93:94], v[76:77], v[29:30]
	v_mul_f64_e32 v[29:30], v[74:75], v[29:30]
	s_wait_loadcnt_dscnt 0x202
	v_mul_f64_e32 v[95:96], v[80:81], v[33:34]
	v_mul_f64_e32 v[33:34], v[78:79], v[33:34]
	;; [unrolled: 3-line block ×4, first 2 shown]
	v_add_f64_e32 v[3:4], v[0:1], v[45:46]
	v_fma_f64 v[15:16], v[65:66], v[23:24], -v[49:50]
	v_add_f64_e64 v[59:60], v[0:1], -v[45:46]
	v_add_f64_e32 v[17:18], v[53:54], v[57:58]
	v_add_f64_e32 v[21:22], v[43:44], v[47:48]
	;; [unrolled: 1-line block ×3, first 2 shown]
	v_fma_f64 v[23:24], v[63:64], v[23:24], v[25:26]
	v_add_f64_e64 v[25:26], v[11:12], -v[13:14]
	v_fma_f64 v[41:42], v[74:75], v[27:28], v[93:94]
	v_fma_f64 v[27:28], v[76:77], v[27:28], -v[29:30]
	v_fma_f64 v[29:30], v[78:79], v[31:32], v[95:96]
	v_fma_f64 v[31:32], v[80:81], v[31:32], -v[33:34]
	v_add_f64_e64 v[33:34], v[43:44], -v[47:48]
	v_fma_f64 v[49:50], v[82:83], v[35:36], v[5:6]
	v_fma_f64 v[35:36], v[84:85], v[35:36], -v[7:8]
	v_fma_f64 v[51:52], v[89:90], v[39:40], v[9:10]
	v_fma_f64 v[37:38], v[91:92], v[39:40], -v[37:38]
	v_add_f64_e32 v[7:8], v[11:12], v[13:14]
	v_add_f64_e64 v[76:77], v[53:54], -v[57:58]
	v_fma_f64 v[3:4], v[3:4], -0.5, v[61:62]
	v_fma_f64 v[17:18], v[17:18], -0.5, v[15:16]
	v_add_f64_e32 v[15:16], v[15:16], v[53:54]
	v_fma_f64 v[21:22], v[21:22], -0.5, v[19:20]
	v_add_f64_e32 v[19:20], v[19:20], v[43:44]
	v_add_f64_e32 v[11:12], v[23:24], v[11:12]
	v_add_f64_e32 v[0:1], v[0:1], v[45:46]
	v_add_f64_e32 v[39:40], v[41:42], v[29:30]
	v_add_f64_e32 v[55:56], v[27:28], v[31:32]
	v_add_f64_e64 v[82:83], v[27:28], -v[31:32]
	v_add_f64_e32 v[65:66], v[49:50], v[51:52]
	v_add_f64_e32 v[74:75], v[35:36], v[37:38]
	v_fma_f64 v[78:79], v[7:8], -0.5, v[23:24]
	ds_load_b128 v[7:10], v88 offset:1632
	v_add_f64_e64 v[61:62], v[35:36], -v[37:38]
	v_fma_f64 v[63:64], v[33:34], s[4:5], v[3:4]
	v_fma_f64 v[33:34], v[33:34], s[10:11], v[3:4]
	ds_load_b128 v[3:6], v112
	v_fma_f64 v[80:81], v[25:26], s[4:5], v[17:18]
	v_fma_f64 v[17:18], v[25:26], s[10:11], v[17:18]
	global_wb scope:SCOPE_SE
	s_wait_dscnt 0x0
	v_fma_f64 v[23:24], v[59:60], s[10:11], v[21:22]
	v_fma_f64 v[21:22], v[59:60], s[4:5], v[21:22]
	v_add_f64_e32 v[19:20], v[19:20], v[47:48]
	s_barrier_signal -1
	s_barrier_wait -1
	global_inv scope:SCOPE_SE
	v_add_f64_e32 v[43:44], v[7:8], v[49:50]
	v_add_f64_e32 v[35:36], v[9:10], v[35:36]
	v_add_f64_e64 v[49:50], v[49:50], -v[51:52]
	v_add_f64_e32 v[25:26], v[3:4], v[41:42]
	v_add_f64_e32 v[27:28], v[5:6], v[27:28]
	v_add_f64_e64 v[41:42], v[41:42], -v[29:30]
	v_fma_f64 v[3:4], v[39:40], -0.5, v[3:4]
	v_fma_f64 v[5:6], v[55:56], -0.5, v[5:6]
	;; [unrolled: 1-line block ×4, first 2 shown]
	v_fma_f64 v[59:60], v[76:77], s[10:11], v[78:79]
	v_mul_f64_e32 v[39:40], s[10:11], v[63:64]
	v_mul_f64_e32 v[53:54], s[10:11], v[33:34]
	v_mul_f64_e32 v[55:56], 0.5, v[63:64]
	v_mul_f64_e32 v[65:66], s[10:11], v[80:81]
	v_mul_f64_e32 v[74:75], 0.5, v[80:81]
	v_mul_f64_e32 v[33:34], -0.5, v[33:34]
	v_fma_f64 v[63:64], v[76:77], s[4:5], v[78:79]
	v_mul_f64_e32 v[76:77], s[10:11], v[17:18]
	v_mul_f64_e32 v[17:18], -0.5, v[17:18]
	v_add_f64_e32 v[25:26], v[25:26], v[29:30]
	v_add_f64_e32 v[27:28], v[27:28], v[31:32]
	;; [unrolled: 1-line block ×6, first 2 shown]
	v_fma_f64 v[43:44], v[82:83], s[10:11], v[3:4]
	v_fma_f64 v[47:48], v[41:42], s[4:5], v[5:6]
	;; [unrolled: 1-line block ×5, first 2 shown]
	v_fma_f64 v[39:40], v[23:24], 0.5, v[39:40]
	v_fma_f64 v[51:52], v[21:22], -0.5, v[53:54]
	v_fma_f64 v[53:54], v[23:24], s[4:5], v[55:56]
	v_fma_f64 v[55:56], v[61:62], s[10:11], v[7:8]
	;; [unrolled: 1-line block ×3, first 2 shown]
	v_fma_f64 v[65:66], v[59:60], 0.5, v[65:66]
	v_fma_f64 v[59:60], v[59:60], s[4:5], v[74:75]
	v_fma_f64 v[33:34], v[21:22], s[4:5], v[33:34]
	;; [unrolled: 1-line block ×3, first 2 shown]
	v_fma_f64 v[74:75], v[63:64], -0.5, v[76:77]
	v_fma_f64 v[63:64], v[63:64], s[4:5], v[17:18]
	v_add_f64_e32 v[3:4], v[25:26], v[19:20]
	v_add_f64_e32 v[5:6], v[27:28], v[0:1]
	v_add_f64_e64 v[7:8], v[25:26], -v[19:20]
	v_add_f64_e64 v[9:10], v[27:28], -v[0:1]
	v_add_f64_e32 v[11:12], v[29:30], v[35:36]
	v_add_f64_e32 v[13:14], v[31:32], v[37:38]
	v_add_f64_e64 v[15:16], v[29:30], -v[35:36]
	v_add_f64_e64 v[17:18], v[31:32], -v[37:38]
                                        ; implicit-def: $vgpr0_vgpr1
	v_add_f64_e32 v[19:20], v[43:44], v[39:40]
	v_add_f64_e32 v[23:24], v[45:46], v[51:52]
	;; [unrolled: 1-line block ×3, first 2 shown]
	v_add_f64_e64 v[27:28], v[43:44], -v[39:40]
	v_add_f64_e64 v[29:30], v[47:48], -v[53:54]
	v_add_f64_e32 v[35:36], v[55:56], v[65:66]
	v_add_f64_e32 v[37:38], v[61:62], v[59:60]
	;; [unrolled: 1-line block ×3, first 2 shown]
	v_add_f64_e64 v[33:34], v[41:42], -v[33:34]
	v_add_f64_e32 v[39:40], v[57:58], v[74:75]
	v_add_f64_e32 v[41:42], v[49:50], v[63:64]
	v_add_f64_e64 v[31:32], v[45:46], -v[51:52]
	v_add_f64_e64 v[43:44], v[55:56], -v[65:66]
	;; [unrolled: 1-line block ×5, first 2 shown]
	ds_store_b128 v88, v[3:6]
	ds_store_b128 v88, v[11:14] offset:1632
	ds_store_b128 v88, v[7:10] offset:9792
	;; [unrolled: 1-line block ×11, first 2 shown]
	global_wb scope:SCOPE_SE
	s_wait_dscnt 0x0
	s_barrier_signal -1
	s_barrier_wait -1
	global_inv scope:SCOPE_SE
	ds_load_b128 v[4:7], v112
	v_sub_nc_u32_e32 v14, v111, v71
                                        ; implicit-def: $vgpr8_vgpr9
                                        ; implicit-def: $vgpr10_vgpr11
                                        ; implicit-def: $vgpr12_vgpr13
	v_cmpx_ne_u32_e32 0, v70
	s_xor_b32 s1, exec_lo, s1
	s_cbranch_execz .LBB0_17
; %bb.16:
	v_mov_b32_e32 v71, v2
	s_delay_alu instid0(VALU_DEP_1) | instskip(NEXT) | instid1(VALU_DEP_1)
	v_lshlrev_b64_e32 v[0:1], 4, v[70:71]
	v_add_co_u32 v0, s0, s8, v0
	s_wait_alu 0xf1ff
	s_delay_alu instid0(VALU_DEP_2)
	v_add_co_ci_u32_e64 v1, s0, s9, v1, s0
	global_load_b128 v[15:18], v[0:1], off offset:19312
	ds_load_b128 v[0:3], v14 offset:19584
	s_wait_dscnt 0x0
	v_add_f64_e64 v[8:9], v[4:5], -v[0:1]
	v_add_f64_e32 v[10:11], v[6:7], v[2:3]
	v_add_f64_e64 v[2:3], v[6:7], -v[2:3]
	v_add_f64_e32 v[0:1], v[4:5], v[0:1]
	s_delay_alu instid0(VALU_DEP_4) | instskip(NEXT) | instid1(VALU_DEP_4)
	v_mul_f64_e32 v[6:7], 0.5, v[8:9]
	v_mul_f64_e32 v[4:5], 0.5, v[10:11]
	s_delay_alu instid0(VALU_DEP_4) | instskip(SKIP_1) | instid1(VALU_DEP_3)
	v_mul_f64_e32 v[2:3], 0.5, v[2:3]
	s_wait_loadcnt 0x0
	v_mul_f64_e32 v[8:9], v[6:7], v[17:18]
	s_delay_alu instid0(VALU_DEP_2) | instskip(SKIP_1) | instid1(VALU_DEP_3)
	v_fma_f64 v[10:11], v[4:5], v[17:18], v[2:3]
	v_fma_f64 v[2:3], v[4:5], v[17:18], -v[2:3]
	v_fma_f64 v[12:13], v[0:1], 0.5, v[8:9]
	v_fma_f64 v[0:1], v[0:1], 0.5, -v[8:9]
	s_delay_alu instid0(VALU_DEP_4) | instskip(NEXT) | instid1(VALU_DEP_4)
	v_fma_f64 v[10:11], -v[15:16], v[6:7], v[10:11]
	v_fma_f64 v[2:3], -v[15:16], v[6:7], v[2:3]
	s_delay_alu instid0(VALU_DEP_4) | instskip(NEXT) | instid1(VALU_DEP_4)
	v_fma_f64 v[8:9], v[4:5], v[15:16], v[12:13]
	v_fma_f64 v[0:1], -v[4:5], v[15:16], v[0:1]
	v_dual_mov_b32 v12, v70 :: v_dual_mov_b32 v13, v71
                                        ; implicit-def: $vgpr4_vgpr5
.LBB0_17:
	s_wait_alu 0xfffe
	s_and_not1_saveexec_b32 s0, s1
	s_cbranch_execz .LBB0_19
; %bb.18:
	s_wait_dscnt 0x0
	v_add_f64_e32 v[8:9], v[4:5], v[6:7]
	v_add_f64_e64 v[0:1], v[4:5], -v[6:7]
	ds_load_b64 v[4:5], v111 offset:9800
	v_mov_b32_e32 v10, 0
	v_dual_mov_b32 v11, 0 :: v_dual_mov_b32 v12, 0
	s_delay_alu instid0(VALU_DEP_2) | instskip(NEXT) | instid1(VALU_DEP_2)
	v_dual_mov_b32 v13, 0 :: v_dual_mov_b32 v2, v10
	v_mov_b32_e32 v3, v11
	s_wait_dscnt 0x0
	v_xor_b32_e32 v5, 0x80000000, v5
	ds_store_b64 v111, v[4:5] offset:9800
.LBB0_19:
	s_wait_alu 0xfffe
	s_or_b32 exec_lo, exec_lo, s0
	s_wait_dscnt 0x0
	v_lshlrev_b64_e32 v[4:5], 4, v[12:13]
	s_add_nc_u64 s[0:1], s[8:9], 0x4b70
	s_wait_alu 0xfffe
	s_delay_alu instid0(VALU_DEP_1) | instskip(SKIP_1) | instid1(VALU_DEP_2)
	v_add_co_u32 v12, s0, s0, v4
	s_wait_alu 0xf1ff
	v_add_co_ci_u32_e64 v13, s0, s1, v5, s0
	s_clause 0x1
	global_load_b128 v[4:7], v[12:13], off offset:1632
	global_load_b128 v[15:18], v[12:13], off offset:3264
	ds_store_2addr_b64 v112, v[8:9], v[10:11] offset1:1
	ds_store_b128 v14, v[0:3] offset:19584
	ds_load_b128 v[0:3], v112 offset:1632
	ds_load_b128 v[8:11], v14 offset:17952
	s_wait_dscnt 0x0
	v_add_f64_e64 v[19:20], v[0:1], -v[8:9]
	v_add_f64_e32 v[21:22], v[2:3], v[10:11]
	v_add_f64_e64 v[2:3], v[2:3], -v[10:11]
	v_add_f64_e32 v[0:1], v[0:1], v[8:9]
	s_delay_alu instid0(VALU_DEP_4) | instskip(NEXT) | instid1(VALU_DEP_4)
	v_mul_f64_e32 v[10:11], 0.5, v[19:20]
	v_mul_f64_e32 v[19:20], 0.5, v[21:22]
	s_delay_alu instid0(VALU_DEP_4) | instskip(SKIP_1) | instid1(VALU_DEP_3)
	v_mul_f64_e32 v[2:3], 0.5, v[2:3]
	s_wait_loadcnt 0x1
	v_mul_f64_e32 v[8:9], v[10:11], v[6:7]
	s_delay_alu instid0(VALU_DEP_2) | instskip(SKIP_1) | instid1(VALU_DEP_3)
	v_fma_f64 v[21:22], v[19:20], v[6:7], v[2:3]
	v_fma_f64 v[2:3], v[19:20], v[6:7], -v[2:3]
	v_fma_f64 v[6:7], v[0:1], 0.5, v[8:9]
	v_fma_f64 v[0:1], v[0:1], 0.5, -v[8:9]
	s_delay_alu instid0(VALU_DEP_4) | instskip(NEXT) | instid1(VALU_DEP_4)
	v_fma_f64 v[8:9], -v[4:5], v[10:11], v[21:22]
	v_fma_f64 v[2:3], -v[4:5], v[10:11], v[2:3]
	s_delay_alu instid0(VALU_DEP_4) | instskip(NEXT) | instid1(VALU_DEP_4)
	v_fma_f64 v[10:11], v[19:20], v[4:5], v[6:7]
	v_fma_f64 v[0:1], -v[19:20], v[4:5], v[0:1]
	global_load_b128 v[4:7], v[12:13], off offset:4896
	ds_store_2addr_b64 v112, v[10:11], v[8:9] offset0:204 offset1:205
	ds_store_b128 v14, v[0:3] offset:17952
	ds_load_b128 v[0:3], v112 offset:3264
	ds_load_b128 v[8:11], v14 offset:16320
	s_wait_dscnt 0x0
	v_add_f64_e64 v[19:20], v[0:1], -v[8:9]
	v_add_f64_e32 v[21:22], v[2:3], v[10:11]
	v_add_f64_e64 v[2:3], v[2:3], -v[10:11]
	v_add_f64_e32 v[0:1], v[0:1], v[8:9]
	s_delay_alu instid0(VALU_DEP_4) | instskip(NEXT) | instid1(VALU_DEP_4)
	v_mul_f64_e32 v[10:11], 0.5, v[19:20]
	v_mul_f64_e32 v[19:20], 0.5, v[21:22]
	s_delay_alu instid0(VALU_DEP_4) | instskip(SKIP_1) | instid1(VALU_DEP_3)
	v_mul_f64_e32 v[2:3], 0.5, v[2:3]
	s_wait_loadcnt 0x1
	v_mul_f64_e32 v[8:9], v[10:11], v[17:18]
	s_delay_alu instid0(VALU_DEP_2) | instskip(SKIP_1) | instid1(VALU_DEP_3)
	v_fma_f64 v[21:22], v[19:20], v[17:18], v[2:3]
	v_fma_f64 v[2:3], v[19:20], v[17:18], -v[2:3]
	v_fma_f64 v[17:18], v[0:1], 0.5, v[8:9]
	v_fma_f64 v[0:1], v[0:1], 0.5, -v[8:9]
	s_delay_alu instid0(VALU_DEP_4) | instskip(NEXT) | instid1(VALU_DEP_4)
	v_fma_f64 v[21:22], -v[15:16], v[10:11], v[21:22]
	v_fma_f64 v[2:3], -v[15:16], v[10:11], v[2:3]
	global_load_b128 v[8:11], v[12:13], off offset:6528
	v_fma_f64 v[17:18], v[19:20], v[15:16], v[17:18]
	v_fma_f64 v[0:1], -v[19:20], v[15:16], v[0:1]
	v_add_nc_u32_e32 v15, 0x800, v112
	ds_store_2addr_b64 v15, v[17:18], v[21:22] offset0:152 offset1:153
	ds_store_b128 v14, v[0:3] offset:16320
	ds_load_b128 v[0:3], v112 offset:4896
	ds_load_b128 v[15:18], v14 offset:14688
	s_wait_dscnt 0x0
	v_add_f64_e64 v[19:20], v[0:1], -v[15:16]
	v_add_f64_e32 v[21:22], v[2:3], v[17:18]
	v_add_f64_e64 v[2:3], v[2:3], -v[17:18]
	v_add_f64_e32 v[0:1], v[0:1], v[15:16]
	s_delay_alu instid0(VALU_DEP_4) | instskip(NEXT) | instid1(VALU_DEP_4)
	v_mul_f64_e32 v[17:18], 0.5, v[19:20]
	v_mul_f64_e32 v[19:20], 0.5, v[21:22]
	s_delay_alu instid0(VALU_DEP_4) | instskip(SKIP_1) | instid1(VALU_DEP_3)
	v_mul_f64_e32 v[2:3], 0.5, v[2:3]
	s_wait_loadcnt 0x1
	v_mul_f64_e32 v[15:16], v[17:18], v[6:7]
	s_delay_alu instid0(VALU_DEP_2) | instskip(SKIP_1) | instid1(VALU_DEP_3)
	v_fma_f64 v[21:22], v[19:20], v[6:7], v[2:3]
	v_fma_f64 v[2:3], v[19:20], v[6:7], -v[2:3]
	v_fma_f64 v[6:7], v[0:1], 0.5, v[15:16]
	v_fma_f64 v[0:1], v[0:1], 0.5, -v[15:16]
	s_delay_alu instid0(VALU_DEP_4) | instskip(NEXT) | instid1(VALU_DEP_4)
	v_fma_f64 v[15:16], -v[4:5], v[17:18], v[21:22]
	v_fma_f64 v[2:3], -v[4:5], v[17:18], v[2:3]
	s_delay_alu instid0(VALU_DEP_4) | instskip(NEXT) | instid1(VALU_DEP_4)
	v_fma_f64 v[17:18], v[19:20], v[4:5], v[6:7]
	v_fma_f64 v[0:1], -v[19:20], v[4:5], v[0:1]
	global_load_b128 v[4:7], v[12:13], off offset:8160
	v_add_nc_u32_e32 v12, 0x1000, v112
	ds_store_2addr_b64 v12, v[17:18], v[15:16] offset0:100 offset1:101
	ds_store_b128 v14, v[0:3] offset:14688
	ds_load_b128 v[0:3], v112 offset:6528
	ds_load_b128 v[15:18], v14 offset:13056
	s_wait_dscnt 0x0
	v_add_f64_e64 v[12:13], v[0:1], -v[15:16]
	v_add_f64_e32 v[19:20], v[2:3], v[17:18]
	v_add_f64_e64 v[2:3], v[2:3], -v[17:18]
	v_add_f64_e32 v[0:1], v[0:1], v[15:16]
	s_delay_alu instid0(VALU_DEP_4) | instskip(NEXT) | instid1(VALU_DEP_4)
	v_mul_f64_e32 v[12:13], 0.5, v[12:13]
	v_mul_f64_e32 v[17:18], 0.5, v[19:20]
	s_delay_alu instid0(VALU_DEP_4) | instskip(SKIP_1) | instid1(VALU_DEP_3)
	v_mul_f64_e32 v[2:3], 0.5, v[2:3]
	s_wait_loadcnt 0x1
	v_mul_f64_e32 v[15:16], v[12:13], v[10:11]
	s_delay_alu instid0(VALU_DEP_2) | instskip(SKIP_1) | instid1(VALU_DEP_3)
	v_fma_f64 v[19:20], v[17:18], v[10:11], v[2:3]
	v_fma_f64 v[2:3], v[17:18], v[10:11], -v[2:3]
	v_fma_f64 v[10:11], v[0:1], 0.5, v[15:16]
	v_fma_f64 v[0:1], v[0:1], 0.5, -v[15:16]
	s_delay_alu instid0(VALU_DEP_4) | instskip(NEXT) | instid1(VALU_DEP_4)
	v_fma_f64 v[15:16], -v[8:9], v[12:13], v[19:20]
	v_fma_f64 v[2:3], -v[8:9], v[12:13], v[2:3]
	s_delay_alu instid0(VALU_DEP_4) | instskip(NEXT) | instid1(VALU_DEP_4)
	v_fma_f64 v[10:11], v[17:18], v[8:9], v[10:11]
	v_fma_f64 v[0:1], -v[17:18], v[8:9], v[0:1]
	v_add_nc_u32_e32 v17, 0x1800, v112
	ds_store_2addr_b64 v17, v[10:11], v[15:16] offset0:48 offset1:49
	ds_store_b128 v14, v[0:3] offset:13056
	ds_load_b128 v[0:3], v112 offset:8160
	ds_load_b128 v[8:11], v14 offset:11424
	s_wait_dscnt 0x0
	v_add_f64_e64 v[12:13], v[0:1], -v[8:9]
	v_add_f64_e32 v[15:16], v[2:3], v[10:11]
	v_add_f64_e64 v[2:3], v[2:3], -v[10:11]
	v_add_f64_e32 v[0:1], v[0:1], v[8:9]
	s_delay_alu instid0(VALU_DEP_4) | instskip(NEXT) | instid1(VALU_DEP_4)
	v_mul_f64_e32 v[10:11], 0.5, v[12:13]
	v_mul_f64_e32 v[12:13], 0.5, v[15:16]
	s_delay_alu instid0(VALU_DEP_4) | instskip(SKIP_1) | instid1(VALU_DEP_3)
	v_mul_f64_e32 v[2:3], 0.5, v[2:3]
	s_wait_loadcnt 0x0
	v_mul_f64_e32 v[8:9], v[10:11], v[6:7]
	s_delay_alu instid0(VALU_DEP_2) | instskip(SKIP_1) | instid1(VALU_DEP_3)
	v_fma_f64 v[15:16], v[12:13], v[6:7], v[2:3]
	v_fma_f64 v[2:3], v[12:13], v[6:7], -v[2:3]
	v_fma_f64 v[6:7], v[0:1], 0.5, v[8:9]
	v_fma_f64 v[0:1], v[0:1], 0.5, -v[8:9]
	s_delay_alu instid0(VALU_DEP_4) | instskip(NEXT) | instid1(VALU_DEP_4)
	v_fma_f64 v[8:9], -v[4:5], v[10:11], v[15:16]
	v_fma_f64 v[2:3], -v[4:5], v[10:11], v[2:3]
	s_delay_alu instid0(VALU_DEP_4) | instskip(NEXT) | instid1(VALU_DEP_4)
	v_fma_f64 v[6:7], v[12:13], v[4:5], v[6:7]
	v_fma_f64 v[0:1], -v[12:13], v[4:5], v[0:1]
	ds_store_2addr_b64 v17, v[6:7], v[8:9] offset0:252 offset1:253
	ds_store_b128 v14, v[0:3] offset:11424
	global_wb scope:SCOPE_SE
	s_wait_dscnt 0x0
	s_barrier_signal -1
	s_barrier_wait -1
	global_inv scope:SCOPE_SE
	s_and_saveexec_b32 s0, vcc_lo
	s_cbranch_execz .LBB0_22
; %bb.20:
	v_mul_lo_u32 v3, s3, v72
	v_mul_lo_u32 v4, s2, v73
	v_mad_co_u64_u32 v[0:1], null, s2, v72, 0
	v_mov_b32_e32 v71, 0
	v_lshlrev_b64_e32 v[11:12], 4, v[68:69]
	v_lshl_add_u32 v2, v70, 4, v111
	v_add_nc_u32_e32 v13, 0x66, v70
	s_delay_alu instid0(VALU_DEP_4)
	v_dual_mov_b32 v16, v71 :: v_dual_add_nc_u32 v15, 0xcc, v70
	v_add3_u32 v1, v1, v4, v3
	v_lshlrev_b64_e32 v[17:18], 4, v[70:71]
	v_mov_b32_e32 v14, v71
	ds_load_b128 v[3:6], v2
	ds_load_b128 v[7:10], v2 offset:1632
	v_lshlrev_b64_e32 v[21:22], 4, v[15:16]
	v_lshlrev_b64_e32 v[0:1], 4, v[0:1]
	v_dual_mov_b32 v26, v71 :: v_dual_add_nc_u32 v25, 0x132, v70
	v_lshlrev_b64_e32 v[19:20], 4, v[13:14]
	v_dual_mov_b32 v28, v71 :: v_dual_add_nc_u32 v27, 0x198, v70
	s_delay_alu instid0(VALU_DEP_4) | instskip(SKIP_3) | instid1(VALU_DEP_3)
	v_add_co_u32 v0, vcc_lo, s6, v0
	s_wait_alu 0xfffd
	v_add_co_ci_u32_e32 v1, vcc_lo, s7, v1, vcc_lo
	v_lshlrev_b64_e32 v[25:26], 4, v[25:26]
	v_add_co_u32 v0, vcc_lo, v0, v11
	s_wait_alu 0xfffd
	s_delay_alu instid0(VALU_DEP_3) | instskip(NEXT) | instid1(VALU_DEP_2)
	v_add_co_ci_u32_e32 v1, vcc_lo, v1, v12, vcc_lo
	v_add_co_u32 v23, vcc_lo, v0, v17
	s_wait_alu 0xfffd
	s_delay_alu instid0(VALU_DEP_2)
	v_add_co_ci_u32_e32 v24, vcc_lo, v1, v18, vcc_lo
	ds_load_b128 v[11:14], v2 offset:3264
	ds_load_b128 v[15:18], v2 offset:4896
	v_add_co_u32 v19, vcc_lo, v0, v19
	s_wait_alu 0xfffd
	v_add_co_ci_u32_e32 v20, vcc_lo, v1, v20, vcc_lo
	v_add_co_u32 v21, vcc_lo, v0, v21
	s_wait_alu 0xfffd
	v_add_co_ci_u32_e32 v22, vcc_lo, v1, v22, vcc_lo
	;; [unrolled: 3-line block ×3, first 2 shown]
	s_wait_dscnt 0x3
	global_store_b128 v[23:24], v[3:6], off
	s_wait_dscnt 0x2
	global_store_b128 v[19:20], v[7:10], off
	;; [unrolled: 2-line block ×4, first 2 shown]
	v_lshlrev_b64_e32 v[3:4], 4, v[27:28]
	v_dual_mov_b32 v12, v71 :: v_dual_add_nc_u32 v11, 0x1fe, v70
	v_dual_mov_b32 v14, v71 :: v_dual_add_nc_u32 v13, 0x264, v70
	v_dual_mov_b32 v26, v71 :: v_dual_add_nc_u32 v25, 0x2ca, v70
	s_delay_alu instid0(VALU_DEP_4)
	v_add_co_u32 v19, vcc_lo, v0, v3
	s_wait_alu 0xfffd
	v_add_co_ci_u32_e32 v20, vcc_lo, v1, v4, vcc_lo
	ds_load_b128 v[3:6], v2 offset:6528
	ds_load_b128 v[7:10], v2 offset:8160
	v_lshlrev_b64_e32 v[21:22], 4, v[11:12]
	v_lshlrev_b64_e32 v[23:24], 4, v[13:14]
	ds_load_b128 v[11:14], v2 offset:9792
	ds_load_b128 v[15:18], v2 offset:11424
	v_lshlrev_b64_e32 v[25:26], 4, v[25:26]
	v_add_nc_u32_e32 v27, 0x330, v70
	v_add_co_u32 v21, vcc_lo, v0, v21
	s_wait_alu 0xfffd
	v_add_co_ci_u32_e32 v22, vcc_lo, v1, v22, vcc_lo
	v_add_co_u32 v23, vcc_lo, v0, v23
	s_wait_alu 0xfffd
	v_add_co_ci_u32_e32 v24, vcc_lo, v1, v24, vcc_lo
	;; [unrolled: 3-line block ×3, first 2 shown]
	s_wait_dscnt 0x3
	global_store_b128 v[19:20], v[3:6], off
	s_wait_dscnt 0x2
	global_store_b128 v[21:22], v[7:10], off
	;; [unrolled: 2-line block ×4, first 2 shown]
	v_mov_b32_e32 v12, v71
	v_lshlrev_b64_e32 v[3:4], 4, v[27:28]
	v_dual_mov_b32 v14, v71 :: v_dual_add_nc_u32 v11, 0x396, v70
	v_dual_mov_b32 v26, v71 :: v_dual_add_nc_u32 v13, 0x3fc, v70
	v_add_nc_u32_e32 v25, 0x462, v70
	s_delay_alu instid0(VALU_DEP_4)
	v_add_co_u32 v19, vcc_lo, v0, v3
	s_wait_alu 0xfffd
	v_add_co_ci_u32_e32 v20, vcc_lo, v1, v4, vcc_lo
	ds_load_b128 v[3:6], v2 offset:13056
	ds_load_b128 v[7:10], v2 offset:14688
	v_lshlrev_b64_e32 v[21:22], 4, v[11:12]
	v_lshlrev_b64_e32 v[23:24], 4, v[13:14]
	ds_load_b128 v[11:14], v2 offset:16320
	ds_load_b128 v[15:18], v2 offset:17952
	v_lshlrev_b64_e32 v[25:26], 4, v[25:26]
	v_add_co_u32 v21, vcc_lo, v0, v21
	s_wait_alu 0xfffd
	v_add_co_ci_u32_e32 v22, vcc_lo, v1, v22, vcc_lo
	v_add_co_u32 v23, vcc_lo, v0, v23
	s_wait_alu 0xfffd
	v_add_co_ci_u32_e32 v24, vcc_lo, v1, v24, vcc_lo
	;; [unrolled: 3-line block ×3, first 2 shown]
	v_cmp_eq_u32_e32 vcc_lo, 0x65, v70
	s_wait_dscnt 0x3
	global_store_b128 v[19:20], v[3:6], off
	s_wait_dscnt 0x2
	global_store_b128 v[21:22], v[7:10], off
	s_wait_dscnt 0x1
	global_store_b128 v[23:24], v[11:14], off
	s_wait_dscnt 0x0
	global_store_b128 v[25:26], v[15:18], off
	s_and_b32 exec_lo, exec_lo, vcc_lo
	s_cbranch_execz .LBB0_22
; %bb.21:
	ds_load_b128 v[2:5], v2 offset:17968
	s_wait_dscnt 0x0
	global_store_b128 v[0:1], v[2:5], off offset:19584
.LBB0_22:
	s_nop 0
	s_sendmsg sendmsg(MSG_DEALLOC_VGPRS)
	s_endpgm
	.section	.rodata,"a",@progbits
	.p2align	6, 0x0
	.amdhsa_kernel fft_rtc_back_len1224_factors_17_3_4_6_wgs_204_tpt_102_halfLds_dp_op_CI_CI_unitstride_sbrr_R2C_dirReg
		.amdhsa_group_segment_fixed_size 0
		.amdhsa_private_segment_fixed_size 108
		.amdhsa_kernarg_size 104
		.amdhsa_user_sgpr_count 2
		.amdhsa_user_sgpr_dispatch_ptr 0
		.amdhsa_user_sgpr_queue_ptr 0
		.amdhsa_user_sgpr_kernarg_segment_ptr 1
		.amdhsa_user_sgpr_dispatch_id 0
		.amdhsa_user_sgpr_private_segment_size 0
		.amdhsa_wavefront_size32 1
		.amdhsa_uses_dynamic_stack 0
		.amdhsa_enable_private_segment 1
		.amdhsa_system_sgpr_workgroup_id_x 1
		.amdhsa_system_sgpr_workgroup_id_y 0
		.amdhsa_system_sgpr_workgroup_id_z 0
		.amdhsa_system_sgpr_workgroup_info 0
		.amdhsa_system_vgpr_workitem_id 0
		.amdhsa_next_free_vgpr 256
		.amdhsa_next_free_sgpr 52
		.amdhsa_reserve_vcc 1
		.amdhsa_float_round_mode_32 0
		.amdhsa_float_round_mode_16_64 0
		.amdhsa_float_denorm_mode_32 3
		.amdhsa_float_denorm_mode_16_64 3
		.amdhsa_fp16_overflow 0
		.amdhsa_workgroup_processor_mode 1
		.amdhsa_memory_ordered 1
		.amdhsa_forward_progress 0
		.amdhsa_round_robin_scheduling 0
		.amdhsa_exception_fp_ieee_invalid_op 0
		.amdhsa_exception_fp_denorm_src 0
		.amdhsa_exception_fp_ieee_div_zero 0
		.amdhsa_exception_fp_ieee_overflow 0
		.amdhsa_exception_fp_ieee_underflow 0
		.amdhsa_exception_fp_ieee_inexact 0
		.amdhsa_exception_int_div_zero 0
	.end_amdhsa_kernel
	.text
.Lfunc_end0:
	.size	fft_rtc_back_len1224_factors_17_3_4_6_wgs_204_tpt_102_halfLds_dp_op_CI_CI_unitstride_sbrr_R2C_dirReg, .Lfunc_end0-fft_rtc_back_len1224_factors_17_3_4_6_wgs_204_tpt_102_halfLds_dp_op_CI_CI_unitstride_sbrr_R2C_dirReg
                                        ; -- End function
	.section	.AMDGPU.csdata,"",@progbits
; Kernel info:
; codeLenInByte = 13308
; NumSgprs: 54
; NumVgprs: 256
; ScratchSize: 108
; MemoryBound: 0
; FloatMode: 240
; IeeeMode: 1
; LDSByteSize: 0 bytes/workgroup (compile time only)
; SGPRBlocks: 6
; VGPRBlocks: 31
; NumSGPRsForWavesPerEU: 54
; NumVGPRsForWavesPerEU: 256
; Occupancy: 5
; WaveLimiterHint : 1
; COMPUTE_PGM_RSRC2:SCRATCH_EN: 1
; COMPUTE_PGM_RSRC2:USER_SGPR: 2
; COMPUTE_PGM_RSRC2:TRAP_HANDLER: 0
; COMPUTE_PGM_RSRC2:TGID_X_EN: 1
; COMPUTE_PGM_RSRC2:TGID_Y_EN: 0
; COMPUTE_PGM_RSRC2:TGID_Z_EN: 0
; COMPUTE_PGM_RSRC2:TIDIG_COMP_CNT: 0
	.text
	.p2alignl 7, 3214868480
	.fill 96, 4, 3214868480
	.type	__hip_cuid_5953d6a83b67856b,@object ; @__hip_cuid_5953d6a83b67856b
	.section	.bss,"aw",@nobits
	.globl	__hip_cuid_5953d6a83b67856b
__hip_cuid_5953d6a83b67856b:
	.byte	0                               ; 0x0
	.size	__hip_cuid_5953d6a83b67856b, 1

	.ident	"AMD clang version 19.0.0git (https://github.com/RadeonOpenCompute/llvm-project roc-6.4.0 25133 c7fe45cf4b819c5991fe208aaa96edf142730f1d)"
	.section	".note.GNU-stack","",@progbits
	.addrsig
	.addrsig_sym __hip_cuid_5953d6a83b67856b
	.amdgpu_metadata
---
amdhsa.kernels:
  - .args:
      - .actual_access:  read_only
        .address_space:  global
        .offset:         0
        .size:           8
        .value_kind:     global_buffer
      - .offset:         8
        .size:           8
        .value_kind:     by_value
      - .actual_access:  read_only
        .address_space:  global
        .offset:         16
        .size:           8
        .value_kind:     global_buffer
      - .actual_access:  read_only
        .address_space:  global
        .offset:         24
        .size:           8
        .value_kind:     global_buffer
      - .actual_access:  read_only
        .address_space:  global
        .offset:         32
        .size:           8
        .value_kind:     global_buffer
      - .offset:         40
        .size:           8
        .value_kind:     by_value
      - .actual_access:  read_only
        .address_space:  global
        .offset:         48
        .size:           8
        .value_kind:     global_buffer
      - .actual_access:  read_only
        .address_space:  global
        .offset:         56
        .size:           8
        .value_kind:     global_buffer
      - .offset:         64
        .size:           4
        .value_kind:     by_value
      - .actual_access:  read_only
        .address_space:  global
        .offset:         72
        .size:           8
        .value_kind:     global_buffer
      - .actual_access:  read_only
        .address_space:  global
        .offset:         80
        .size:           8
        .value_kind:     global_buffer
      - .actual_access:  read_only
        .address_space:  global
        .offset:         88
        .size:           8
        .value_kind:     global_buffer
      - .actual_access:  write_only
        .address_space:  global
        .offset:         96
        .size:           8
        .value_kind:     global_buffer
    .group_segment_fixed_size: 0
    .kernarg_segment_align: 8
    .kernarg_segment_size: 104
    .language:       OpenCL C
    .language_version:
      - 2
      - 0
    .max_flat_workgroup_size: 204
    .name:           fft_rtc_back_len1224_factors_17_3_4_6_wgs_204_tpt_102_halfLds_dp_op_CI_CI_unitstride_sbrr_R2C_dirReg
    .private_segment_fixed_size: 108
    .sgpr_count:     54
    .sgpr_spill_count: 0
    .symbol:         fft_rtc_back_len1224_factors_17_3_4_6_wgs_204_tpt_102_halfLds_dp_op_CI_CI_unitstride_sbrr_R2C_dirReg.kd
    .uniform_work_group_size: 1
    .uses_dynamic_stack: false
    .vgpr_count:     256
    .vgpr_spill_count: 26
    .wavefront_size: 32
    .workgroup_processor_mode: 1
amdhsa.target:   amdgcn-amd-amdhsa--gfx1201
amdhsa.version:
  - 1
  - 2
...

	.end_amdgpu_metadata
